;; amdgpu-corpus repo=ROCm/rocFFT kind=compiled arch=gfx1201 opt=O3
	.text
	.amdgcn_target "amdgcn-amd-amdhsa--gfx1201"
	.amdhsa_code_object_version 6
	.protected	fft_rtc_fwd_len408_factors_17_3_8_wgs_51_tpt_17_halfLds_sp_op_CI_CI_unitstride_sbrr_dirReg ; -- Begin function fft_rtc_fwd_len408_factors_17_3_8_wgs_51_tpt_17_halfLds_sp_op_CI_CI_unitstride_sbrr_dirReg
	.globl	fft_rtc_fwd_len408_factors_17_3_8_wgs_51_tpt_17_halfLds_sp_op_CI_CI_unitstride_sbrr_dirReg
	.p2align	8
	.type	fft_rtc_fwd_len408_factors_17_3_8_wgs_51_tpt_17_halfLds_sp_op_CI_CI_unitstride_sbrr_dirReg,@function
fft_rtc_fwd_len408_factors_17_3_8_wgs_51_tpt_17_halfLds_sp_op_CI_CI_unitstride_sbrr_dirReg: ; @fft_rtc_fwd_len408_factors_17_3_8_wgs_51_tpt_17_halfLds_sp_op_CI_CI_unitstride_sbrr_dirReg
; %bb.0:
	s_load_b128 s[8:11], s[0:1], 0x0
	v_mul_u32_u24_e32 v1, 0xf10, v0
	s_clause 0x1
	s_load_b128 s[4:7], s[0:1], 0x58
	s_load_b128 s[12:15], s[0:1], 0x18
	v_mov_b32_e32 v74, 0
	v_lshrrev_b32_e32 v2, 16, v1
	v_mov_b32_e32 v1, 0
	s_delay_alu instid0(VALU_DEP_2) | instskip(NEXT) | instid1(VALU_DEP_2)
	v_mad_co_u64_u32 v[72:73], null, ttmp9, 3, v[2:3]
	v_mov_b32_e32 v73, v1
	s_delay_alu instid0(VALU_DEP_2) | instskip(SKIP_2) | instid1(VALU_DEP_2)
	v_dual_mov_b32 v75, 0 :: v_dual_mov_b32 v10, v72
	s_wait_kmcnt 0x0
	v_cmp_lt_u64_e64 s2, s[10:11], 2
	v_dual_mov_b32 v8, v74 :: v_dual_mov_b32 v9, v75
	v_mov_b32_e32 v11, v73
	s_delay_alu instid0(VALU_DEP_3)
	s_and_b32 vcc_lo, exec_lo, s2
	s_cbranch_vccnz .LBB0_8
; %bb.1:
	s_load_b64 s[2:3], s[0:1], 0x10
	v_dual_mov_b32 v74, 0 :: v_dual_mov_b32 v3, v72
	v_dual_mov_b32 v75, 0 :: v_dual_mov_b32 v4, v73
	s_delay_alu instid0(VALU_DEP_2) | instskip(SKIP_2) | instid1(VALU_DEP_2)
	v_mov_b32_e32 v8, v74
	s_add_nc_u64 s[16:17], s[14:15], 8
	s_add_nc_u64 s[18:19], s[12:13], 8
	v_mov_b32_e32 v9, v75
	s_mov_b64 s[20:21], 1
	s_wait_kmcnt 0x0
	s_add_nc_u64 s[22:23], s[2:3], 8
	s_mov_b32 s3, 0
.LBB0_2:                                ; =>This Inner Loop Header: Depth=1
	s_load_b64 s[24:25], s[22:23], 0x0
                                        ; implicit-def: $vgpr10_vgpr11
	s_mov_b32 s2, exec_lo
	s_wait_kmcnt 0x0
	v_or_b32_e32 v2, s25, v4
	s_delay_alu instid0(VALU_DEP_1)
	v_cmpx_ne_u64_e32 0, v[1:2]
	s_wait_alu 0xfffe
	s_xor_b32 s26, exec_lo, s2
	s_cbranch_execz .LBB0_4
; %bb.3:                                ;   in Loop: Header=BB0_2 Depth=1
	s_cvt_f32_u32 s2, s24
	s_cvt_f32_u32 s27, s25
	s_sub_nc_u64 s[30:31], 0, s[24:25]
	s_wait_alu 0xfffe
	s_delay_alu instid0(SALU_CYCLE_1) | instskip(SKIP_1) | instid1(SALU_CYCLE_2)
	s_fmamk_f32 s2, s27, 0x4f800000, s2
	s_wait_alu 0xfffe
	v_s_rcp_f32 s2, s2
	s_delay_alu instid0(TRANS32_DEP_1) | instskip(SKIP_1) | instid1(SALU_CYCLE_2)
	s_mul_f32 s2, s2, 0x5f7ffffc
	s_wait_alu 0xfffe
	s_mul_f32 s27, s2, 0x2f800000
	s_wait_alu 0xfffe
	s_delay_alu instid0(SALU_CYCLE_2) | instskip(SKIP_1) | instid1(SALU_CYCLE_2)
	s_trunc_f32 s27, s27
	s_wait_alu 0xfffe
	s_fmamk_f32 s2, s27, 0xcf800000, s2
	s_cvt_u32_f32 s29, s27
	s_wait_alu 0xfffe
	s_delay_alu instid0(SALU_CYCLE_1) | instskip(SKIP_1) | instid1(SALU_CYCLE_2)
	s_cvt_u32_f32 s28, s2
	s_wait_alu 0xfffe
	s_mul_u64 s[34:35], s[30:31], s[28:29]
	s_wait_alu 0xfffe
	s_mul_hi_u32 s37, s28, s35
	s_mul_i32 s36, s28, s35
	s_mul_hi_u32 s2, s28, s34
	s_mul_i32 s33, s29, s34
	s_wait_alu 0xfffe
	s_add_nc_u64 s[36:37], s[2:3], s[36:37]
	s_mul_hi_u32 s27, s29, s34
	s_mul_hi_u32 s38, s29, s35
	s_add_co_u32 s2, s36, s33
	s_wait_alu 0xfffe
	s_add_co_ci_u32 s2, s37, s27
	s_mul_i32 s34, s29, s35
	s_add_co_ci_u32 s35, s38, 0
	s_wait_alu 0xfffe
	s_add_nc_u64 s[34:35], s[2:3], s[34:35]
	s_wait_alu 0xfffe
	v_add_co_u32 v2, s2, s28, s34
	s_delay_alu instid0(VALU_DEP_1) | instskip(SKIP_1) | instid1(VALU_DEP_1)
	s_cmp_lg_u32 s2, 0
	s_add_co_ci_u32 s29, s29, s35
	v_readfirstlane_b32 s28, v2
	s_wait_alu 0xfffe
	s_delay_alu instid0(VALU_DEP_1)
	s_mul_u64 s[30:31], s[30:31], s[28:29]
	s_wait_alu 0xfffe
	s_mul_hi_u32 s35, s28, s31
	s_mul_i32 s34, s28, s31
	s_mul_hi_u32 s2, s28, s30
	s_mul_i32 s33, s29, s30
	s_wait_alu 0xfffe
	s_add_nc_u64 s[34:35], s[2:3], s[34:35]
	s_mul_hi_u32 s27, s29, s30
	s_mul_hi_u32 s28, s29, s31
	s_wait_alu 0xfffe
	s_add_co_u32 s2, s34, s33
	s_add_co_ci_u32 s2, s35, s27
	s_mul_i32 s30, s29, s31
	s_add_co_ci_u32 s31, s28, 0
	s_wait_alu 0xfffe
	s_add_nc_u64 s[30:31], s[2:3], s[30:31]
	s_wait_alu 0xfffe
	v_add_co_u32 v2, s2, v2, s30
	s_delay_alu instid0(VALU_DEP_1) | instskip(SKIP_1) | instid1(VALU_DEP_1)
	s_cmp_lg_u32 s2, 0
	s_add_co_ci_u32 s2, s29, s31
	v_mul_hi_u32 v7, v3, v2
	s_wait_alu 0xfffe
	v_mad_co_u64_u32 v[5:6], null, v3, s2, 0
	v_mad_co_u64_u32 v[10:11], null, v4, v2, 0
	;; [unrolled: 1-line block ×3, first 2 shown]
	s_delay_alu instid0(VALU_DEP_3) | instskip(SKIP_1) | instid1(VALU_DEP_4)
	v_add_co_u32 v2, vcc_lo, v7, v5
	s_wait_alu 0xfffd
	v_add_co_ci_u32_e32 v5, vcc_lo, 0, v6, vcc_lo
	s_delay_alu instid0(VALU_DEP_2) | instskip(SKIP_1) | instid1(VALU_DEP_2)
	v_add_co_u32 v2, vcc_lo, v2, v10
	s_wait_alu 0xfffd
	v_add_co_ci_u32_e32 v2, vcc_lo, v5, v11, vcc_lo
	s_wait_alu 0xfffd
	v_add_co_ci_u32_e32 v5, vcc_lo, 0, v13, vcc_lo
	s_delay_alu instid0(VALU_DEP_2) | instskip(SKIP_1) | instid1(VALU_DEP_2)
	v_add_co_u32 v2, vcc_lo, v2, v12
	s_wait_alu 0xfffd
	v_add_co_ci_u32_e32 v7, vcc_lo, 0, v5, vcc_lo
	s_delay_alu instid0(VALU_DEP_2) | instskip(SKIP_1) | instid1(VALU_DEP_3)
	v_mul_lo_u32 v10, s25, v2
	v_mad_co_u64_u32 v[5:6], null, s24, v2, 0
	v_mul_lo_u32 v11, s24, v7
	s_delay_alu instid0(VALU_DEP_2) | instskip(NEXT) | instid1(VALU_DEP_2)
	v_sub_co_u32 v5, vcc_lo, v3, v5
	v_add3_u32 v6, v6, v11, v10
	s_delay_alu instid0(VALU_DEP_1) | instskip(SKIP_1) | instid1(VALU_DEP_1)
	v_sub_nc_u32_e32 v10, v4, v6
	s_wait_alu 0xfffd
	v_subrev_co_ci_u32_e64 v10, s2, s25, v10, vcc_lo
	v_add_co_u32 v11, s2, v2, 2
	s_wait_alu 0xf1ff
	v_add_co_ci_u32_e64 v12, s2, 0, v7, s2
	v_sub_co_u32 v13, s2, v5, s24
	v_sub_co_ci_u32_e32 v6, vcc_lo, v4, v6, vcc_lo
	s_wait_alu 0xf1ff
	v_subrev_co_ci_u32_e64 v10, s2, 0, v10, s2
	s_delay_alu instid0(VALU_DEP_3) | instskip(NEXT) | instid1(VALU_DEP_3)
	v_cmp_le_u32_e32 vcc_lo, s24, v13
	v_cmp_eq_u32_e64 s2, s25, v6
	s_wait_alu 0xfffd
	v_cndmask_b32_e64 v13, 0, -1, vcc_lo
	v_cmp_le_u32_e32 vcc_lo, s25, v10
	s_wait_alu 0xfffd
	v_cndmask_b32_e64 v14, 0, -1, vcc_lo
	v_cmp_le_u32_e32 vcc_lo, s24, v5
	;; [unrolled: 3-line block ×3, first 2 shown]
	s_wait_alu 0xfffd
	v_cndmask_b32_e64 v15, 0, -1, vcc_lo
	v_cmp_eq_u32_e32 vcc_lo, s25, v10
	s_wait_alu 0xf1ff
	s_delay_alu instid0(VALU_DEP_2)
	v_cndmask_b32_e64 v5, v15, v5, s2
	s_wait_alu 0xfffd
	v_cndmask_b32_e32 v10, v14, v13, vcc_lo
	v_add_co_u32 v13, vcc_lo, v2, 1
	s_wait_alu 0xfffd
	v_add_co_ci_u32_e32 v14, vcc_lo, 0, v7, vcc_lo
	s_delay_alu instid0(VALU_DEP_3) | instskip(SKIP_1) | instid1(VALU_DEP_2)
	v_cmp_ne_u32_e32 vcc_lo, 0, v10
	s_wait_alu 0xfffd
	v_cndmask_b32_e32 v6, v14, v12, vcc_lo
	v_cndmask_b32_e32 v10, v13, v11, vcc_lo
	v_cmp_ne_u32_e32 vcc_lo, 0, v5
	s_wait_alu 0xfffd
	s_delay_alu instid0(VALU_DEP_3) | instskip(NEXT) | instid1(VALU_DEP_3)
	v_cndmask_b32_e32 v11, v7, v6, vcc_lo
	v_cndmask_b32_e32 v10, v2, v10, vcc_lo
.LBB0_4:                                ;   in Loop: Header=BB0_2 Depth=1
	s_wait_alu 0xfffe
	s_and_not1_saveexec_b32 s2, s26
	s_cbranch_execz .LBB0_6
; %bb.5:                                ;   in Loop: Header=BB0_2 Depth=1
	v_cvt_f32_u32_e32 v2, s24
	s_sub_co_i32 s26, 0, s24
	v_mov_b32_e32 v11, v1
	s_delay_alu instid0(VALU_DEP_2) | instskip(NEXT) | instid1(TRANS32_DEP_1)
	v_rcp_iflag_f32_e32 v2, v2
	v_mul_f32_e32 v2, 0x4f7ffffe, v2
	s_delay_alu instid0(VALU_DEP_1) | instskip(SKIP_1) | instid1(VALU_DEP_1)
	v_cvt_u32_f32_e32 v2, v2
	s_wait_alu 0xfffe
	v_mul_lo_u32 v5, s26, v2
	s_delay_alu instid0(VALU_DEP_1) | instskip(NEXT) | instid1(VALU_DEP_1)
	v_mul_hi_u32 v5, v2, v5
	v_add_nc_u32_e32 v2, v2, v5
	s_delay_alu instid0(VALU_DEP_1) | instskip(NEXT) | instid1(VALU_DEP_1)
	v_mul_hi_u32 v2, v3, v2
	v_mul_lo_u32 v5, v2, s24
	v_add_nc_u32_e32 v6, 1, v2
	s_delay_alu instid0(VALU_DEP_2) | instskip(NEXT) | instid1(VALU_DEP_1)
	v_sub_nc_u32_e32 v5, v3, v5
	v_subrev_nc_u32_e32 v7, s24, v5
	v_cmp_le_u32_e32 vcc_lo, s24, v5
	s_wait_alu 0xfffd
	s_delay_alu instid0(VALU_DEP_2) | instskip(NEXT) | instid1(VALU_DEP_1)
	v_dual_cndmask_b32 v5, v5, v7 :: v_dual_cndmask_b32 v2, v2, v6
	v_cmp_le_u32_e32 vcc_lo, s24, v5
	s_delay_alu instid0(VALU_DEP_2) | instskip(SKIP_1) | instid1(VALU_DEP_1)
	v_add_nc_u32_e32 v6, 1, v2
	s_wait_alu 0xfffd
	v_cndmask_b32_e32 v10, v2, v6, vcc_lo
.LBB0_6:                                ;   in Loop: Header=BB0_2 Depth=1
	s_wait_alu 0xfffe
	s_or_b32 exec_lo, exec_lo, s2
	v_mul_lo_u32 v2, v11, s24
	s_delay_alu instid0(VALU_DEP_2)
	v_mul_lo_u32 v7, v10, s25
	s_load_b64 s[26:27], s[18:19], 0x0
	v_mad_co_u64_u32 v[5:6], null, v10, s24, 0
	s_load_b64 s[24:25], s[16:17], 0x0
	s_add_nc_u64 s[20:21], s[20:21], 1
	s_add_nc_u64 s[16:17], s[16:17], 8
	s_wait_alu 0xfffe
	v_cmp_ge_u64_e64 s2, s[20:21], s[10:11]
	s_add_nc_u64 s[18:19], s[18:19], 8
	s_add_nc_u64 s[22:23], s[22:23], 8
	v_add3_u32 v2, v6, v7, v2
	v_sub_co_u32 v3, vcc_lo, v3, v5
	s_wait_alu 0xfffd
	s_delay_alu instid0(VALU_DEP_2) | instskip(SKIP_2) | instid1(VALU_DEP_1)
	v_sub_co_ci_u32_e32 v2, vcc_lo, v4, v2, vcc_lo
	s_and_b32 vcc_lo, exec_lo, s2
	s_wait_kmcnt 0x0
	v_mul_lo_u32 v4, s26, v2
	v_mul_lo_u32 v5, s27, v3
	v_mad_co_u64_u32 v[74:75], null, s26, v3, v[74:75]
	v_mul_lo_u32 v2, s24, v2
	v_mul_lo_u32 v6, s25, v3
	v_mad_co_u64_u32 v[8:9], null, s24, v3, v[8:9]
	s_delay_alu instid0(VALU_DEP_4) | instskip(NEXT) | instid1(VALU_DEP_2)
	v_add3_u32 v75, v5, v75, v4
	v_add3_u32 v9, v6, v9, v2
	s_wait_alu 0xfffe
	s_cbranch_vccnz .LBB0_8
; %bb.7:                                ;   in Loop: Header=BB0_2 Depth=1
	v_dual_mov_b32 v3, v10 :: v_dual_mov_b32 v4, v11
	s_branch .LBB0_2
.LBB0_8:
	s_load_b64 s[0:1], s[0:1], 0x28
	v_mul_hi_u32 v2, 0xf0f0f10, v0
	s_lshl_b64 s[10:11], s[10:11], 3
                                        ; implicit-def: $vgpr76
	s_wait_alu 0xfffe
	s_add_nc_u64 s[2:3], s[14:15], s[10:11]
                                        ; implicit-def: $sgpr14
	s_wait_kmcnt 0x0
	v_cmp_gt_u64_e32 vcc_lo, s[0:1], v[10:11]
	v_cmp_le_u64_e64 s0, s[0:1], v[10:11]
	s_delay_alu instid0(VALU_DEP_1)
	s_and_saveexec_b32 s1, s0
	s_wait_alu 0xfffe
	s_xor_b32 s0, exec_lo, s1
; %bb.9:
	v_mul_u32_u24_e32 v1, 17, v2
	s_mov_b32 s14, 0
                                        ; implicit-def: $vgpr2
                                        ; implicit-def: $vgpr74_vgpr75
	s_delay_alu instid0(VALU_DEP_1)
	v_sub_nc_u32_e32 v76, v0, v1
                                        ; implicit-def: $vgpr0
; %bb.10:
	s_wait_alu 0xfffe
	s_or_saveexec_b32 s1, s0
	s_load_b64 s[2:3], s[2:3], 0x0
	v_dual_mov_b32 v21, s14 :: v_dual_mov_b32 v20, s14
                                        ; implicit-def: $vgpr63
                                        ; implicit-def: $vgpr71
                                        ; implicit-def: $vgpr69
                                        ; implicit-def: $vgpr59
                                        ; implicit-def: $vgpr55
                                        ; implicit-def: $vgpr51
                                        ; implicit-def: $vgpr47
                                        ; implicit-def: $vgpr43
                                        ; implicit-def: $vgpr39
                                        ; implicit-def: $vgpr41
                                        ; implicit-def: $vgpr45
                                        ; implicit-def: $vgpr49
                                        ; implicit-def: $vgpr53
                                        ; implicit-def: $vgpr57
                                        ; implicit-def: $vgpr61
                                        ; implicit-def: $vgpr65
                                        ; implicit-def: $vgpr37
                                        ; implicit-def: $vgpr35
                                        ; implicit-def: $vgpr27
                                        ; implicit-def: $vgpr23
                                        ; implicit-def: $vgpr17
                                        ; implicit-def: $vgpr13
                                        ; implicit-def: $vgpr5
                                        ; implicit-def: $vgpr1
                                        ; implicit-def: $vgpr31
                                        ; implicit-def: $vgpr33
                                        ; implicit-def: $vgpr29
                                        ; implicit-def: $vgpr25
                                        ; implicit-def: $vgpr19
                                        ; implicit-def: $vgpr15
                                        ; implicit-def: $vgpr7
                                        ; implicit-def: $vgpr3
                                        ; implicit-def: $vgpr67
	s_xor_b32 exec_lo, exec_lo, s1
	s_cbranch_execz .LBB0_14
; %bb.11:
	s_add_nc_u64 s[10:11], s[12:13], s[10:11]
	v_mov_b32_e32 v20, 0
	s_load_b64 s[10:11], s[10:11], 0x0
                                        ; implicit-def: $vgpr6
                                        ; implicit-def: $vgpr14
                                        ; implicit-def: $vgpr18
                                        ; implicit-def: $vgpr24
                                        ; implicit-def: $vgpr28
                                        ; implicit-def: $vgpr32
                                        ; implicit-def: $vgpr30
                                        ; implicit-def: $vgpr12
                                        ; implicit-def: $vgpr16
                                        ; implicit-def: $vgpr22
                                        ; implicit-def: $vgpr26
                                        ; implicit-def: $vgpr34
                                        ; implicit-def: $vgpr36
	v_mov_b32_e32 v21, 0
	s_wait_kmcnt 0x0
	v_mul_lo_u32 v1, s11, v10
	v_mul_lo_u32 v5, s10, v11
	v_mad_co_u64_u32 v[3:4], null, s10, v10, 0
	s_delay_alu instid0(VALU_DEP_1) | instskip(SKIP_1) | instid1(VALU_DEP_2)
	v_add3_u32 v4, v4, v5, v1
	v_mul_u32_u24_e32 v5, 17, v2
	v_lshlrev_b64_e32 v[1:2], 3, v[3:4]
	v_lshlrev_b64_e32 v[3:4], 3, v[74:75]
	s_delay_alu instid0(VALU_DEP_3) | instskip(NEXT) | instid1(VALU_DEP_3)
	v_sub_nc_u32_e32 v76, v0, v5
	v_add_co_u32 v0, s0, s4, v1
	s_wait_alu 0xf1ff
	s_delay_alu instid0(VALU_DEP_4) | instskip(NEXT) | instid1(VALU_DEP_3)
	v_add_co_ci_u32_e64 v1, s0, s5, v2, s0
	v_lshlrev_b32_e32 v2, 3, v76
	s_delay_alu instid0(VALU_DEP_3) | instskip(SKIP_1) | instid1(VALU_DEP_3)
	v_add_co_u32 v0, s0, v0, v3
	s_wait_alu 0xf1ff
	v_add_co_ci_u32_e64 v1, s0, v1, v4, s0
	s_mov_b32 s4, exec_lo
	s_delay_alu instid0(VALU_DEP_2) | instskip(SKIP_1) | instid1(VALU_DEP_2)
	v_add_co_u32 v73, s0, v0, v2
	s_wait_alu 0xf1ff
	v_add_co_ci_u32_e64 v74, s0, 0, v1, s0
                                        ; implicit-def: $vgpr2
                                        ; implicit-def: $vgpr0
                                        ; implicit-def: $vgpr4
	s_clause 0x10
	global_load_b64 v[62:63], v[73:74], off
	global_load_b64 v[70:71], v[73:74], off offset:192
	global_load_b64 v[68:69], v[73:74], off offset:384
	;; [unrolled: 1-line block ×16, first 2 shown]
	v_cmpx_gt_u32_e32 7, v76
; %bb.12:
	s_clause 0x10
	global_load_b64 v[20:21], v[73:74], off offset:136
	global_load_b64 v[36:37], v[73:74], off offset:328
	global_load_b64 v[34:35], v[73:74], off offset:520
	global_load_b64 v[26:27], v[73:74], off offset:712
	global_load_b64 v[22:23], v[73:74], off offset:904
	global_load_b64 v[16:17], v[73:74], off offset:1096
	global_load_b64 v[12:13], v[73:74], off offset:1288
	global_load_b64 v[4:5], v[73:74], off offset:1480
	global_load_b64 v[0:1], v[73:74], off offset:1672
	global_load_b64 v[2:3], v[73:74], off offset:1864
	global_load_b64 v[6:7], v[73:74], off offset:2056
	global_load_b64 v[14:15], v[73:74], off offset:2248
	global_load_b64 v[18:19], v[73:74], off offset:2440
	global_load_b64 v[24:25], v[73:74], off offset:2632
	global_load_b64 v[28:29], v[73:74], off offset:2824
	global_load_b64 v[32:33], v[73:74], off offset:3016
	global_load_b64 v[30:31], v[73:74], off offset:3208
; %bb.13:
	s_wait_alu 0xfffe
	s_or_b32 exec_lo, exec_lo, s4
.LBB0_14:
	s_delay_alu instid0(SALU_CYCLE_1)
	s_or_b32 exec_lo, exec_lo, s1
	s_wait_loadcnt 0x0
	v_dual_sub_f32 v77, v71, v65 :: v_dual_add_f32 v78, v66, v68
	v_add_f32_e32 v75, v70, v64
	v_mul_hi_u32 v74, 0xaaaaaaab, v72
	v_sub_f32_e32 v79, v69, v67
	v_cmp_gt_u32_e64 s0, 7, v76
	v_mul_f32_e32 v90, 0xbf7ba420, v78
	v_mul_f32_e32 v88, 0x3dbcf732, v78
	v_dual_add_f32 v73, v62, v70 :: v_dual_mul_f32 v80, 0x3f6eb680, v75
	v_mul_f32_e32 v82, 0x3ee437d1, v75
	v_lshrrev_b32_e32 v74, 1, v74
	s_delay_alu instid0(VALU_DEP_3) | instskip(SKIP_2) | instid1(VALU_DEP_4)
	v_dual_mul_f32 v84, 0xbe8c1d8e, v75 :: v_dual_add_f32 v73, v73, v68
	v_fmamk_f32 v99, v79, 0x3f7ee86f, v88
	v_fmac_f32_e32 v88, 0xbf7ee86f, v79
	v_lshl_add_u32 v74, v74, 1, v74
	s_delay_alu instid0(VALU_DEP_4) | instskip(SKIP_3) | instid1(VALU_DEP_3)
	v_fmamk_f32 v95, v77, 0x3f763a35, v84
	v_dual_add_f32 v73, v73, v58 :: v_dual_mul_f32 v86, 0xbf59a7d5, v75
	v_fmac_f32_e32 v84, 0xbf763a35, v77
	v_fmamk_f32 v91, v77, 0x3eb8f4ab, v80
	v_dual_fmac_f32 v80, 0xbeb8f4ab, v77 :: v_dual_add_f32 v73, v73, v54
	s_delay_alu instid0(VALU_DEP_3) | instskip(NEXT) | instid1(VALU_DEP_3)
	v_dual_mul_f32 v81, 0x3f3d2fb0, v75 :: v_dual_add_f32 v84, v84, v62
	v_add_f32_e32 v91, v91, v62
	s_delay_alu instid0(VALU_DEP_3) | instskip(NEXT) | instid1(VALU_DEP_4)
	v_add_f32_e32 v80, v80, v62
	v_add_f32_e32 v73, v73, v50
	s_delay_alu instid0(VALU_DEP_4) | instskip(SKIP_2) | instid1(VALU_DEP_4)
	v_fmamk_f32 v92, v77, 0x3f2c7751, v81
	v_mul_f32_e32 v83, 0x3dbcf732, v75
	v_fmamk_f32 v97, v77, 0x3f06c442, v86
	v_dual_fmac_f32 v86, 0xbf06c442, v77 :: v_dual_add_f32 v73, v73, v46
	v_fmamk_f32 v93, v77, 0x3f65296c, v82
	v_fmac_f32_e32 v82, 0xbf65296c, v77
	v_dual_mul_f32 v85, 0xbf1a4643, v75 :: v_dual_add_f32 v92, v92, v62
	v_fmamk_f32 v94, v77, 0x3f7ee86f, v83
	v_mul_f32_e32 v75, 0xbf7ba420, v75
	v_add_f32_e32 v73, v73, v42
	v_sub_nc_u32_e32 v72, v72, v74
	v_add_f32_e32 v82, v82, v62
	v_add_f32_e32 v94, v94, v62
	v_fmamk_f32 v98, v77, 0x3e3c28d5, v75
	v_fmac_f32_e32 v75, 0xbe3c28d5, v77
	v_add_f32_e32 v73, v73, v38
	v_add_f32_e32 v97, v97, v62
	s_delay_alu instid0(VALU_DEP_3)
	v_add_f32_e32 v74, v75, v62
	v_add_f32_e32 v95, v95, v62
	v_dual_fmac_f32 v83, 0xbf7ee86f, v77 :: v_dual_add_f32 v98, v98, v62
	v_fmamk_f32 v96, v77, 0x3f4c4adb, v85
	v_add_f32_e32 v73, v73, v40
	v_fmac_f32_e32 v85, 0xbf4c4adb, v77
	s_delay_alu instid0(VALU_DEP_4) | instskip(NEXT) | instid1(VALU_DEP_4)
	v_add_f32_e32 v83, v83, v62
	v_dual_fmac_f32 v81, 0xbf2c7751, v77 :: v_dual_add_f32 v96, v96, v62
	v_add_f32_e32 v86, v86, v62
	v_add_f32_e32 v93, v93, v62
	;; [unrolled: 1-line block ×3, first 2 shown]
	s_delay_alu instid0(VALU_DEP_4) | instskip(SKIP_3) | instid1(VALU_DEP_1)
	v_add_f32_e32 v81, v81, v62
	v_mul_f32_e32 v89, 0xbf1a4643, v78
	v_add_f32_e32 v73, v73, v44
	v_mul_u32_u24_e32 v62, 0x198, v72
	v_dual_add_f32 v73, v73, v48 :: v_dual_lshlrev_b32 v62, 2, v62
	s_delay_alu instid0(VALU_DEP_1) | instskip(NEXT) | instid1(VALU_DEP_1)
	v_add_f32_e32 v73, v73, v52
	v_add_f32_e32 v73, v73, v56
	s_delay_alu instid0(VALU_DEP_1) | instskip(NEXT) | instid1(VALU_DEP_1)
	v_add_f32_e32 v73, v73, v60
	v_add_f32_e32 v73, v73, v66
	s_delay_alu instid0(VALU_DEP_1) | instskip(NEXT) | instid1(VALU_DEP_1)
	v_dual_mul_f32 v87, 0x3f3d2fb0, v78 :: v_dual_add_f32 v72, v73, v64
	v_fmamk_f32 v77, v79, 0x3f2c7751, v87
	v_fmac_f32_e32 v87, 0xbf2c7751, v79
	v_dual_add_f32 v73, v92, v99 :: v_dual_mul_f32 v92, 0x3ee437d1, v78
	s_delay_alu instid0(VALU_DEP_3) | instskip(NEXT) | instid1(VALU_DEP_3)
	v_add_f32_e32 v75, v91, v77
	v_dual_add_f32 v77, v80, v87 :: v_dual_add_f32 v80, v81, v88
	v_fmamk_f32 v87, v79, 0x3e3c28d5, v90
	v_fmamk_f32 v100, v79, 0x3f4c4adb, v89
	v_mul_f32_e32 v88, 0xbf59a7d5, v78
	v_fmac_f32_e32 v90, 0xbe3c28d5, v79
	s_delay_alu instid0(VALU_DEP_4) | instskip(SKIP_1) | instid1(VALU_DEP_1)
	v_dual_add_f32 v87, v94, v87 :: v_dual_sub_f32 v94, v59, v61
	v_fmac_f32_e32 v89, 0xbf4c4adb, v79
	v_dual_add_f32 v83, v83, v90 :: v_dual_add_f32 v82, v82, v89
	v_fmamk_f32 v91, v79, 0xbf06c442, v88
	v_fmac_f32_e32 v88, 0x3f06c442, v79
	s_delay_alu instid0(VALU_DEP_1) | instskip(SKIP_1) | instid1(VALU_DEP_2)
	v_dual_add_f32 v84, v84, v88 :: v_dual_mul_f32 v89, 0xbe8c1d8e, v78
	v_mul_f32_e32 v78, 0x3f6eb680, v78
	v_fmamk_f32 v90, v79, 0xbf763a35, v89
	s_delay_alu instid0(VALU_DEP_1) | instskip(SKIP_1) | instid1(VALU_DEP_2)
	v_dual_add_f32 v88, v96, v90 :: v_dual_fmac_f32 v89, 0x3f763a35, v79
	v_fmamk_f32 v90, v79, 0xbf65296c, v92
	v_dual_fmac_f32 v92, 0x3f65296c, v79 :: v_dual_add_f32 v85, v85, v89
	v_add_f32_e32 v89, v58, v60
	s_delay_alu instid0(VALU_DEP_2)
	v_add_f32_e32 v86, v86, v92
	v_add_f32_e32 v81, v93, v100
	;; [unrolled: 1-line block ×3, first 2 shown]
	v_fmamk_f32 v93, v79, 0xbeb8f4ab, v78
	v_mul_f32_e32 v92, 0xbf1a4643, v89
	v_fmac_f32_e32 v78, 0x3eb8f4ab, v79
	s_delay_alu instid0(VALU_DEP_3) | instskip(NEXT) | instid1(VALU_DEP_3)
	v_dual_add_f32 v90, v97, v90 :: v_dual_add_f32 v79, v98, v93
	v_fmamk_f32 v96, v94, 0x3f4c4adb, v92
	v_fmac_f32_e32 v92, 0xbf4c4adb, v94
	s_delay_alu instid0(VALU_DEP_2) | instskip(NEXT) | instid1(VALU_DEP_2)
	v_dual_add_f32 v74, v74, v78 :: v_dual_add_f32 v73, v96, v73
	v_add_f32_e32 v80, v92, v80
	v_mul_f32_e32 v92, 0x3f3d2fb0, v89
	s_delay_alu instid0(VALU_DEP_1) | instskip(SKIP_2) | instid1(VALU_DEP_3)
	v_fmamk_f32 v96, v94, 0xbf2c7751, v92
	v_fmac_f32_e32 v92, 0x3f2c7751, v94
	v_mul_f32_e32 v95, 0x3ee437d1, v89
	v_dual_mul_f32 v78, 0xbf7ba420, v89 :: v_dual_add_f32 v91, v96, v91
	s_delay_alu instid0(VALU_DEP_2) | instskip(NEXT) | instid1(VALU_DEP_4)
	v_dual_sub_f32 v96, v55, v57 :: v_dual_fmamk_f32 v93, v94, 0x3f65296c, v95
	v_dual_fmac_f32 v95, 0xbf65296c, v94 :: v_dual_add_f32 v84, v92, v84
	s_delay_alu instid0(VALU_DEP_2) | instskip(NEXT) | instid1(VALU_DEP_4)
	v_dual_mul_f32 v92, 0x3dbcf732, v89 :: v_dual_add_f32 v75, v93, v75
	v_fmamk_f32 v93, v94, 0xbe3c28d5, v78
	s_delay_alu instid0(VALU_DEP_3) | instskip(NEXT) | instid1(VALU_DEP_1)
	v_dual_fmac_f32 v78, 0x3e3c28d5, v94 :: v_dual_add_f32 v77, v95, v77
	v_dual_add_f32 v81, v93, v81 :: v_dual_add_f32 v78, v78, v82
	v_mul_f32_e32 v95, 0xbe8c1d8e, v89
	v_mul_f32_e32 v82, 0x3f6eb680, v89
	s_delay_alu instid0(VALU_DEP_2) | instskip(SKIP_1) | instid1(VALU_DEP_2)
	v_fmamk_f32 v93, v94, 0xbf763a35, v95
	v_fmac_f32_e32 v95, 0x3f763a35, v94
	v_add_f32_e32 v87, v93, v87
	s_delay_alu instid0(VALU_DEP_4) | instskip(NEXT) | instid1(VALU_DEP_3)
	v_fmamk_f32 v93, v94, 0x3eb8f4ab, v82
	v_dual_fmac_f32 v82, 0xbeb8f4ab, v94 :: v_dual_add_f32 v83, v95, v83
	s_delay_alu instid0(VALU_DEP_2) | instskip(NEXT) | instid1(VALU_DEP_2)
	v_add_f32_e32 v88, v93, v88
	v_add_f32_e32 v82, v82, v85
	;; [unrolled: 1-line block ×3, first 2 shown]
	v_mul_f32_e32 v89, 0xbf59a7d5, v89
	v_fmamk_f32 v93, v94, 0x3f7ee86f, v92
	v_fmac_f32_e32 v92, 0xbf7ee86f, v94
	s_delay_alu instid0(VALU_DEP_4) | instskip(NEXT) | instid1(VALU_DEP_3)
	v_mul_f32_e32 v97, 0x3dbcf732, v85
	v_dual_fmamk_f32 v95, v94, 0x3f06c442, v89 :: v_dual_add_f32 v90, v93, v90
	s_delay_alu instid0(VALU_DEP_3) | instskip(NEXT) | instid1(VALU_DEP_3)
	v_dual_add_f32 v86, v92, v86 :: v_dual_mul_f32 v93, 0xbf7ba420, v85
	v_fmamk_f32 v92, v96, 0x3f7ee86f, v97
	v_fmac_f32_e32 v89, 0xbf06c442, v94
	s_delay_alu instid0(VALU_DEP_4) | instskip(SKIP_1) | instid1(VALU_DEP_4)
	v_add_f32_e32 v79, v95, v79
	v_mul_f32_e32 v95, 0x3f6eb680, v85
	v_add_f32_e32 v75, v92, v75
	v_fmamk_f32 v92, v96, 0x3e3c28d5, v93
	v_dual_fmac_f32 v93, 0xbe3c28d5, v96 :: v_dual_add_f32 v74, v89, v74
	s_delay_alu instid0(VALU_DEP_1) | instskip(SKIP_2) | instid1(VALU_DEP_2)
	v_dual_add_f32 v73, v92, v73 :: v_dual_add_f32 v80, v93, v80
	v_fmamk_f32 v92, v96, 0xbeb8f4ab, v95
	v_mul_f32_e32 v93, 0x3ee437d1, v85
	v_add_f32_e32 v87, v92, v87
	s_delay_alu instid0(VALU_DEP_2) | instskip(SKIP_1) | instid1(VALU_DEP_1)
	v_fmamk_f32 v92, v96, 0x3f65296c, v93
	v_fmac_f32_e32 v93, 0xbf65296c, v96
	v_dual_add_f32 v84, v93, v84 :: v_dual_mul_f32 v89, 0xbe8c1d8e, v85
	v_sub_f32_e32 v93, v51, v53
	v_fmac_f32_e32 v95, 0x3eb8f4ab, v96
	s_delay_alu instid0(VALU_DEP_3) | instskip(SKIP_1) | instid1(VALU_DEP_3)
	v_fmamk_f32 v94, v96, 0xbf763a35, v89
	v_fmac_f32_e32 v89, 0x3f763a35, v96
	v_add_f32_e32 v83, v95, v83
	s_delay_alu instid0(VALU_DEP_2) | instskip(SKIP_3) | instid1(VALU_DEP_3)
	v_dual_mul_f32 v95, 0xbf1a4643, v85 :: v_dual_add_f32 v78, v89, v78
	v_mul_f32_e32 v89, 0xbf59a7d5, v85
	v_add_f32_e32 v81, v94, v81
	v_mul_f32_e32 v85, 0x3f3d2fb0, v85
	v_fmamk_f32 v94, v96, 0x3f06c442, v89
	v_fmac_f32_e32 v89, 0xbf06c442, v96
	s_delay_alu instid0(VALU_DEP_2) | instskip(NEXT) | instid1(VALU_DEP_2)
	v_add_f32_e32 v88, v94, v88
	v_dual_add_f32 v82, v89, v82 :: v_dual_fmac_f32 v97, 0xbf7ee86f, v96
	v_add_f32_e32 v89, v50, v52
	s_delay_alu instid0(VALU_DEP_2) | instskip(NEXT) | instid1(VALU_DEP_2)
	v_add_f32_e32 v77, v97, v77
	v_dual_mul_f32 v94, 0xbe8c1d8e, v89 :: v_dual_add_f32 v91, v92, v91
	v_fmamk_f32 v92, v96, 0xbf4c4adb, v95
	s_delay_alu instid0(VALU_DEP_1) | instskip(SKIP_1) | instid1(VALU_DEP_2)
	v_dual_fmac_f32 v95, 0x3f4c4adb, v96 :: v_dual_add_f32 v90, v92, v90
	v_fmamk_f32 v92, v96, 0xbf2c7751, v85
	v_dual_fmac_f32 v85, 0x3f2c7751, v96 :: v_dual_add_f32 v86, v95, v86
	v_fmamk_f32 v95, v93, 0x3f763a35, v94
	s_delay_alu instid0(VALU_DEP_3) | instskip(SKIP_1) | instid1(VALU_DEP_3)
	v_dual_fmac_f32 v94, 0xbf763a35, v93 :: v_dual_add_f32 v79, v92, v79
	v_mul_f32_e32 v92, 0xbf59a7d5, v89
	v_dual_add_f32 v74, v85, v74 :: v_dual_add_f32 v75, v95, v75
	s_delay_alu instid0(VALU_DEP_2) | instskip(SKIP_2) | instid1(VALU_DEP_2)
	v_fmamk_f32 v96, v93, 0xbf06c442, v92
	v_fmac_f32_e32 v92, 0x3f06c442, v93
	v_mul_f32_e32 v85, 0x3f3d2fb0, v89
	v_dual_mul_f32 v95, 0x3ee437d1, v89 :: v_dual_add_f32 v80, v92, v80
	v_mul_f32_e32 v92, 0xbf7ba420, v89
	s_delay_alu instid0(VALU_DEP_3) | instskip(SKIP_1) | instid1(VALU_DEP_1)
	v_dual_add_f32 v77, v94, v77 :: v_dual_fmamk_f32 v94, v93, 0xbf2c7751, v85
	v_fmac_f32_e32 v85, 0x3f2c7751, v93
	v_dual_add_f32 v78, v85, v78 :: v_dual_mul_f32 v85, 0x3dbcf732, v89
	s_delay_alu instid0(VALU_DEP_4) | instskip(NEXT) | instid1(VALU_DEP_1)
	v_dual_add_f32 v73, v96, v73 :: v_dual_fmamk_f32 v96, v93, 0x3e3c28d5, v92
	v_dual_fmac_f32 v92, 0xbe3c28d5, v93 :: v_dual_add_f32 v91, v96, v91
	v_sub_f32_e32 v96, v47, v49
	v_dual_add_f32 v81, v94, v81 :: v_dual_fmamk_f32 v94, v93, 0x3f65296c, v95
	s_delay_alu instid0(VALU_DEP_3) | instskip(SKIP_2) | instid1(VALU_DEP_4)
	v_add_f32_e32 v84, v92, v84
	v_mul_f32_e32 v92, 0x3f6eb680, v89
	v_mul_f32_e32 v89, 0xbf1a4643, v89
	v_dual_add_f32 v87, v94, v87 :: v_dual_fmamk_f32 v94, v93, 0xbf7ee86f, v85
	s_delay_alu instid0(VALU_DEP_1) | instskip(NEXT) | instid1(VALU_DEP_1)
	v_dual_fmac_f32 v85, 0x3f7ee86f, v93 :: v_dual_add_f32 v88, v94, v88
	v_dual_add_f32 v82, v85, v82 :: v_dual_add_f32 v85, v46, v48
	v_fmamk_f32 v94, v93, 0x3eb8f4ab, v92
	v_fmac_f32_e32 v92, 0xbeb8f4ab, v93
	s_delay_alu instid0(VALU_DEP_2) | instskip(NEXT) | instid1(VALU_DEP_2)
	v_dual_mul_f32 v97, 0xbf1a4643, v85 :: v_dual_add_f32 v90, v94, v90
	v_add_f32_e32 v86, v92, v86
	s_delay_alu instid0(VALU_DEP_2) | instskip(SKIP_2) | instid1(VALU_DEP_3)
	v_fmamk_f32 v92, v96, 0x3f4c4adb, v97
	v_fmac_f32_e32 v95, 0xbf65296c, v93
	v_fmac_f32_e32 v97, 0xbf4c4adb, v96
	v_add_f32_e32 v75, v92, v75
	s_delay_alu instid0(VALU_DEP_3) | instskip(SKIP_3) | instid1(VALU_DEP_3)
	v_add_f32_e32 v83, v95, v83
	v_fmamk_f32 v95, v93, 0x3f4c4adb, v89
	v_fmac_f32_e32 v89, 0xbf4c4adb, v93
	v_mul_f32_e32 v93, 0xbe8c1d8e, v85
	v_add_f32_e32 v79, v95, v79
	v_mul_f32_e32 v95, 0xbf59a7d5, v85
	s_delay_alu instid0(VALU_DEP_3) | instskip(SKIP_2) | instid1(VALU_DEP_2)
	v_fmamk_f32 v92, v96, 0xbf763a35, v93
	v_dual_fmac_f32 v93, 0x3f763a35, v96 :: v_dual_add_f32 v74, v89, v74
	v_mul_f32_e32 v89, 0x3f6eb680, v85
	v_dual_add_f32 v73, v92, v73 :: v_dual_add_f32 v80, v93, v80
	v_fmamk_f32 v92, v96, 0x3f06c442, v95
	v_mul_f32_e32 v93, 0x3dbcf732, v85
	s_delay_alu instid0(VALU_DEP_4) | instskip(NEXT) | instid1(VALU_DEP_3)
	v_dual_add_f32 v77, v97, v77 :: v_dual_fmamk_f32 v94, v96, 0x3eb8f4ab, v89
	v_add_f32_e32 v87, v92, v87
	s_delay_alu instid0(VALU_DEP_3) | instskip(SKIP_1) | instid1(VALU_DEP_1)
	v_fmamk_f32 v92, v96, 0xbf7ee86f, v93
	v_fmac_f32_e32 v93, 0x3f7ee86f, v96
	v_dual_add_f32 v84, v93, v84 :: v_dual_sub_f32 v93, v43, v45
	v_fmac_f32_e32 v89, 0xbeb8f4ab, v96
	s_delay_alu instid0(VALU_DEP_1) | instskip(SKIP_1) | instid1(VALU_DEP_1)
	v_dual_add_f32 v91, v92, v91 :: v_dual_add_f32 v78, v89, v78
	v_mul_f32_e32 v89, 0x3f3d2fb0, v85
	v_dual_add_f32 v81, v94, v81 :: v_dual_fmamk_f32 v94, v96, 0x3f2c7751, v89
	v_fmac_f32_e32 v89, 0xbf2c7751, v96
	s_delay_alu instid0(VALU_DEP_2) | instskip(NEXT) | instid1(VALU_DEP_2)
	v_add_f32_e32 v88, v94, v88
	v_dual_add_f32 v82, v89, v82 :: v_dual_add_f32 v89, v42, v44
	s_delay_alu instid0(VALU_DEP_1) | instskip(SKIP_1) | instid1(VALU_DEP_1)
	v_mul_f32_e32 v94, 0xbf59a7d5, v89
	v_fmac_f32_e32 v95, 0xbf06c442, v96
	v_add_f32_e32 v83, v95, v83
	v_mul_f32_e32 v95, 0xbf7ba420, v85
	v_mul_f32_e32 v85, 0x3ee437d1, v85
	s_delay_alu instid0(VALU_DEP_2) | instskip(NEXT) | instid1(VALU_DEP_1)
	v_fmamk_f32 v92, v96, 0x3e3c28d5, v95
	v_dual_fmac_f32 v95, 0xbe3c28d5, v96 :: v_dual_add_f32 v90, v92, v90
	s_delay_alu instid0(VALU_DEP_3) | instskip(NEXT) | instid1(VALU_DEP_2)
	v_fmamk_f32 v92, v96, 0xbf65296c, v85
	v_dual_fmac_f32 v85, 0x3f65296c, v96 :: v_dual_add_f32 v86, v95, v86
	v_fmamk_f32 v95, v93, 0x3f06c442, v94
	s_delay_alu instid0(VALU_DEP_3) | instskip(SKIP_1) | instid1(VALU_DEP_4)
	v_dual_fmac_f32 v94, 0xbf06c442, v93 :: v_dual_add_f32 v79, v92, v79
	v_mul_f32_e32 v92, 0x3ee437d1, v89
	v_dual_add_f32 v74, v85, v74 :: v_dual_mul_f32 v85, 0x3dbcf732, v89
	s_delay_alu instid0(VALU_DEP_4) | instskip(SKIP_1) | instid1(VALU_DEP_4)
	v_add_f32_e32 v75, v95, v75
	v_mul_f32_e32 v95, 0xbf1a4643, v89
	v_fmamk_f32 v96, v93, 0xbf65296c, v92
	v_fmac_f32_e32 v92, 0x3f65296c, v93
	s_delay_alu instid0(VALU_DEP_1) | instskip(SKIP_3) | instid1(VALU_DEP_1)
	v_add_f32_e32 v80, v92, v80
	v_mul_f32_e32 v92, 0x3f6eb680, v89
	v_dual_add_f32 v77, v94, v77 :: v_dual_fmamk_f32 v94, v93, 0x3f7ee86f, v85
	v_fmac_f32_e32 v85, 0xbf7ee86f, v93
	v_dual_add_f32 v78, v85, v78 :: v_dual_mul_f32 v85, 0xbf7ba420, v89
	s_delay_alu instid0(VALU_DEP_4) | instskip(NEXT) | instid1(VALU_DEP_1)
	v_dual_add_f32 v73, v96, v73 :: v_dual_fmamk_f32 v96, v93, 0x3eb8f4ab, v92
	v_dual_fmac_f32 v92, 0xbeb8f4ab, v93 :: v_dual_add_f32 v91, v96, v91
	v_sub_f32_e32 v96, v39, v41
	v_dual_add_f32 v81, v94, v81 :: v_dual_fmamk_f32 v94, v93, 0xbf4c4adb, v95
	s_delay_alu instid0(VALU_DEP_3) | instskip(SKIP_2) | instid1(VALU_DEP_4)
	v_add_f32_e32 v84, v92, v84
	v_mul_f32_e32 v92, 0x3f3d2fb0, v89
	v_mul_f32_e32 v89, 0xbe8c1d8e, v89
	v_dual_add_f32 v87, v94, v87 :: v_dual_fmamk_f32 v94, v93, 0x3e3c28d5, v85
	s_delay_alu instid0(VALU_DEP_1) | instskip(NEXT) | instid1(VALU_DEP_1)
	v_dual_fmac_f32 v85, 0xbe3c28d5, v93 :: v_dual_add_f32 v88, v94, v88
	v_dual_add_f32 v82, v85, v82 :: v_dual_add_f32 v85, v38, v40
	v_fmamk_f32 v94, v93, 0xbf2c7751, v92
	v_fmac_f32_e32 v92, 0x3f2c7751, v93
	s_delay_alu instid0(VALU_DEP_2) | instskip(NEXT) | instid1(VALU_DEP_2)
	v_dual_mul_f32 v97, 0xbf7ba420, v85 :: v_dual_add_f32 v90, v94, v90
	v_add_f32_e32 v86, v92, v86
	s_delay_alu instid0(VALU_DEP_2) | instskip(SKIP_2) | instid1(VALU_DEP_3)
	v_fmamk_f32 v92, v96, 0x3e3c28d5, v97
	v_fmac_f32_e32 v95, 0x3f4c4adb, v93
	v_fmac_f32_e32 v97, 0xbe3c28d5, v96
	v_add_f32_e32 v75, v92, v75
	s_delay_alu instid0(VALU_DEP_3) | instskip(SKIP_4) | instid1(VALU_DEP_3)
	v_add_f32_e32 v83, v95, v83
	v_fmamk_f32 v95, v93, 0x3f763a35, v89
	v_fmac_f32_e32 v89, 0xbf763a35, v93
	v_mul_f32_e32 v93, 0x3f6eb680, v85
	v_add_f32_e32 v77, v97, v77
	v_dual_add_f32 v79, v95, v79 :: v_dual_add_f32 v74, v89, v74
	v_mul_f32_e32 v89, 0xbf59a7d5, v85
	s_delay_alu instid0(VALU_DEP_4) | instskip(SKIP_2) | instid1(VALU_DEP_4)
	v_fmamk_f32 v92, v96, 0xbeb8f4ab, v93
	v_fmac_f32_e32 v93, 0x3eb8f4ab, v96
	v_mul_f32_e32 v95, 0x3f3d2fb0, v85
	v_fmamk_f32 v94, v96, 0x3f06c442, v89
	s_delay_alu instid0(VALU_DEP_4) | instskip(NEXT) | instid1(VALU_DEP_3)
	v_dual_fmac_f32 v89, 0xbf06c442, v96 :: v_dual_add_f32 v92, v92, v73
	v_dual_add_f32 v80, v93, v80 :: v_dual_fmamk_f32 v73, v96, 0xbf2c7751, v95
	v_mul_f32_e32 v93, 0xbf1a4643, v85
	s_delay_alu instid0(VALU_DEP_3)
	v_dual_fmac_f32 v95, 0x3f2c7751, v96 :: v_dual_add_f32 v78, v89, v78
	v_mul_f32_e32 v89, 0x3ee437d1, v85
	v_add_f32_e32 v81, v94, v81
	v_add_f32_e32 v87, v73, v87
	v_fmamk_f32 v73, v96, 0x3f4c4adb, v93
	v_fmac_f32_e32 v93, 0xbf4c4adb, v96
	v_dual_fmamk_f32 v94, v96, 0xbf65296c, v89 :: v_dual_add_f32 v83, v95, v83
	v_fmac_f32_e32 v89, 0x3f65296c, v96
	v_mul_f32_e32 v95, 0xbe8c1d8e, v85
	v_mul_f32_e32 v85, 0x3dbcf732, v85
	v_add_f32_e32 v91, v73, v91
	v_add_f32_e32 v84, v93, v84
	s_delay_alu instid0(VALU_DEP_4) | instskip(SKIP_3) | instid1(VALU_DEP_4)
	v_dual_add_f32 v82, v89, v82 :: v_dual_fmamk_f32 v73, v96, 0x3f763a35, v95
	v_mul_u32_u24_e32 v89, 0x44, v76
	v_fmamk_f32 v93, v96, 0xbf7ee86f, v85
	v_fmac_f32_e32 v85, 0x3f7ee86f, v96
	v_dual_fmac_f32 v95, 0xbf763a35, v96 :: v_dual_add_f32 v90, v73, v90
	s_delay_alu instid0(VALU_DEP_4) | instskip(SKIP_1) | instid1(VALU_DEP_4)
	v_add3_u32 v73, 0, v89, v62
	v_add_f32_e32 v88, v94, v88
	v_dual_add_f32 v74, v85, v74 :: v_dual_add_nc_u32 v85, 17, v76
	v_add_f32_e32 v79, v93, v79
	ds_store_2addr_b32 v73, v72, v75 offset1:1
	ds_store_2addr_b32 v73, v92, v81 offset0:2 offset1:3
	ds_store_2addr_b32 v73, v87, v91 offset0:4 offset1:5
	;; [unrolled: 1-line block ×3, first 2 shown]
	v_add_f32_e32 v86, v95, v86
	ds_store_2addr_b32 v73, v79, v74 offset0:8 offset1:9
	ds_store_2addr_b32 v73, v86, v82 offset0:10 offset1:11
	;; [unrolled: 1-line block ×4, first 2 shown]
	ds_store_b32 v73, v77 offset:64
	v_mul_u32_u24_e32 v72, 0x44, v85
	s_and_saveexec_b32 s1, s0
	s_cbranch_execz .LBB0_16
; %bb.15:
	v_dual_sub_f32 v85, v37, v31 :: v_dual_add_f32 v80, v36, v30
	v_dual_add_f32 v77, v34, v32 :: v_dual_sub_f32 v86, v35, v33
	v_dual_add_f32 v74, v26, v28 :: v_dual_sub_f32 v87, v27, v29
	s_delay_alu instid0(VALU_DEP_3) | instskip(NEXT) | instid1(VALU_DEP_3)
	v_dual_mul_f32 v90, 0xbe3c28d5, v85 :: v_dual_add_f32 v75, v22, v24
	v_dual_mul_f32 v91, 0x3eb8f4ab, v86 :: v_dual_sub_f32 v84, v17, v19
	v_dual_sub_f32 v83, v23, v25 :: v_dual_add_f32 v78, v16, v18
	s_delay_alu instid0(VALU_DEP_3) | instskip(SKIP_2) | instid1(VALU_DEP_3)
	v_dual_fmamk_f32 v79, v80, 0xbf7ba420, v90 :: v_dual_sub_f32 v88, v13, v15
	v_fma_f32 v90, 0xbf7ba420, v80, -v90
	v_mul_f32_e32 v92, 0xbf06c442, v87
	v_dual_fmamk_f32 v81, v77, 0x3f6eb680, v91 :: v_dual_add_f32 v82, v20, v79
	v_fma_f32 v91, 0x3f6eb680, v77, -v91
	s_delay_alu instid0(VALU_DEP_4) | instskip(SKIP_1) | instid1(VALU_DEP_4)
	v_add_f32_e32 v90, v20, v90
	v_add_f32_e32 v79, v12, v14
	v_dual_mul_f32 v93, 0x3f2c7751, v83 :: v_dual_add_f32 v82, v82, v81
	v_dual_fmamk_f32 v94, v74, 0xbf59a7d5, v92 :: v_dual_add_f32 v81, v4, v6
	v_fma_f32 v92, 0xbf59a7d5, v74, -v92
	v_add_f32_e32 v90, v90, v91
	s_delay_alu instid0(VALU_DEP_4) | instskip(NEXT) | instid1(VALU_DEP_4)
	v_dual_sub_f32 v89, v5, v7 :: v_dual_fmamk_f32 v96, v75, 0x3f3d2fb0, v93
	v_dual_mul_f32 v95, 0xbf4c4adb, v84 :: v_dual_add_f32 v94, v82, v94
	v_dual_add_f32 v82, v0, v2 :: v_dual_mul_f32 v97, 0x3f65296c, v88
	s_delay_alu instid0(VALU_DEP_4) | instskip(SKIP_1) | instid1(VALU_DEP_4)
	v_add_f32_e32 v90, v90, v92
	v_fma_f32 v92, 0x3f3d2fb0, v75, -v93
	v_dual_add_f32 v94, v94, v96 :: v_dual_mul_f32 v103, 0x3f4c4adb, v83
	s_delay_alu instid0(VALU_DEP_4) | instskip(SKIP_1) | instid1(VALU_DEP_4)
	v_fmamk_f32 v99, v79, 0x3ee437d1, v97
	v_mul_f32_e32 v96, 0xbf763a35, v89
	v_add_f32_e32 v90, v90, v92
	v_fma_f32 v92, 0xbf1a4643, v78, -v95
	v_mul_f32_e32 v102, 0xbf7ee86f, v87
	v_mul_f32_e32 v104, 0xbf06c442, v83
	;; [unrolled: 1-line block ×4, first 2 shown]
	v_add_f32_e32 v90, v90, v92
	v_fma_f32 v92, 0x3ee437d1, v79, -v97
	v_fmamk_f32 v97, v75, 0xbf1a4643, v103
	v_fmamk_f32 v100, v81, 0xbe8c1d8e, v96
	;; [unrolled: 1-line block ×3, first 2 shown]
	v_mul_f32_e32 v112, 0x3f763a35, v88
	v_dual_add_f32 v90, v90, v92 :: v_dual_mul_f32 v109, 0x3eb8f4ab, v83
	s_delay_alu instid0(VALU_DEP_3) | instskip(SKIP_1) | instid1(VALU_DEP_1)
	v_dual_mul_f32 v111, 0xbf4c4adb, v87 :: v_dual_add_f32 v94, v94, v98
	v_mul_f32_e32 v98, 0xbf06c442, v85
	v_fmamk_f32 v101, v80, 0xbf59a7d5, v98
	s_delay_alu instid0(VALU_DEP_3) | instskip(SKIP_2) | instid1(VALU_DEP_3)
	v_add_f32_e32 v91, v94, v99
	v_dual_sub_f32 v94, v1, v3 :: v_dual_mul_f32 v99, 0x3f65296c, v86
	v_fma_f32 v96, 0xbe8c1d8e, v81, -v96
	v_add_f32_e32 v91, v91, v100
	s_delay_alu instid0(VALU_DEP_3) | instskip(NEXT) | instid1(VALU_DEP_3)
	v_dual_mul_f32 v93, 0x3f7ee86f, v94 :: v_dual_add_f32 v100, v20, v101
	v_dual_fmamk_f32 v101, v77, 0x3ee437d1, v99 :: v_dual_add_f32 v90, v90, v96
	v_fma_f32 v99, 0x3ee437d1, v77, -v99
	s_delay_alu instid0(VALU_DEP_3) | instskip(SKIP_1) | instid1(VALU_DEP_2)
	v_fmamk_f32 v95, v82, 0x3dbcf732, v93
	v_fma_f32 v93, 0x3dbcf732, v82, -v93
	v_add_f32_e32 v91, v91, v95
	v_fma_f32 v92, 0xbf59a7d5, v80, -v98
	v_mul_f32_e32 v98, 0xbe3c28d5, v88
	s_delay_alu instid0(VALU_DEP_2) | instskip(NEXT) | instid1(VALU_DEP_2)
	v_add_f32_e32 v92, v20, v92
	v_fmamk_f32 v96, v79, 0xbf7ba420, v98
	v_dual_add_f32 v100, v100, v101 :: v_dual_fmamk_f32 v101, v74, 0x3dbcf732, v102
	s_delay_alu instid0(VALU_DEP_1) | instskip(SKIP_2) | instid1(VALU_DEP_3)
	v_add_f32_e32 v95, v100, v101
	v_mul_f32_e32 v101, 0xbf4c4adb, v85
	v_add_f32_e32 v90, v90, v93
	v_dual_add_f32 v95, v95, v97 :: v_dual_mul_f32 v100, 0xbeb8f4ab, v84
	s_delay_alu instid0(VALU_DEP_1) | instskip(NEXT) | instid1(VALU_DEP_1)
	v_fmamk_f32 v97, v78, 0x3f6eb680, v100
	v_add_f32_e32 v95, v95, v97
	v_mul_f32_e32 v97, 0x3f2c7751, v89
	s_delay_alu instid0(VALU_DEP_1) | instskip(SKIP_3) | instid1(VALU_DEP_4)
	v_dual_add_f32 v95, v95, v96 :: v_dual_fmamk_f32 v96, v81, 0x3f3d2fb0, v97
	v_add_f32_e32 v92, v92, v99
	v_fma_f32 v99, 0x3dbcf732, v74, -v102
	v_fma_f32 v97, 0x3f3d2fb0, v81, -v97
	v_add_f32_e32 v93, v95, v96
	v_fmamk_f32 v95, v80, 0xbf1a4643, v101
	s_delay_alu instid0(VALU_DEP_4) | instskip(SKIP_1) | instid1(VALU_DEP_3)
	v_add_f32_e32 v92, v92, v99
	v_fma_f32 v99, 0xbf1a4643, v75, -v103
	v_add_f32_e32 v95, v20, v95
	v_fma_f32 v98, 0xbf7ba420, v79, -v98
	s_delay_alu instid0(VALU_DEP_3) | instskip(SKIP_2) | instid1(VALU_DEP_1)
	v_add_f32_e32 v92, v92, v99
	v_fma_f32 v99, 0x3f6eb680, v78, -v100
	v_mul_f32_e32 v100, 0xbf763a35, v94
	v_dual_add_f32 v92, v92, v99 :: v_dual_fmamk_f32 v99, v82, 0xbe8c1d8e, v100
	s_delay_alu instid0(VALU_DEP_1) | instskip(SKIP_1) | instid1(VALU_DEP_3)
	v_add_f32_e32 v93, v93, v99
	v_mul_f32_e32 v99, 0x3f7ee86f, v84
	v_dual_mul_f32 v103, 0xbeb8f4ab, v87 :: v_dual_add_f32 v92, v92, v98
	v_fmamk_f32 v98, v75, 0xbf59a7d5, v104
	s_delay_alu instid0(VALU_DEP_2) | instskip(SKIP_4) | instid1(VALU_DEP_4)
	v_add_f32_e32 v92, v92, v97
	v_fma_f32 v97, 0xbe8c1d8e, v82, -v100
	v_fma_f32 v100, 0xbf1a4643, v80, -v101
	v_mul_f32_e32 v101, 0xbf2c7751, v88
	v_mul_f32_e32 v96, 0x3f763a35, v86
	v_add_f32_e32 v92, v92, v97
	s_delay_alu instid0(VALU_DEP_4) | instskip(NEXT) | instid1(VALU_DEP_3)
	v_dual_add_f32 v97, v20, v100 :: v_dual_mul_f32 v100, 0xbf763a35, v85
	v_fmamk_f32 v102, v77, 0xbe8c1d8e, v96
	v_fma_f32 v96, 0xbe8c1d8e, v77, -v96
	s_delay_alu instid0(VALU_DEP_2) | instskip(NEXT) | instid1(VALU_DEP_2)
	v_dual_add_f32 v95, v95, v102 :: v_dual_fmamk_f32 v102, v74, 0x3f6eb680, v103
	v_add_f32_e32 v96, v97, v96
	v_fma_f32 v97, 0x3f6eb680, v74, -v103
	v_mul_f32_e32 v103, 0x3f06c442, v86
	s_delay_alu instid0(VALU_DEP_4) | instskip(NEXT) | instid1(VALU_DEP_1)
	v_dual_add_f32 v95, v95, v102 :: v_dual_mul_f32 v102, 0xbe3c28d5, v89
	v_dual_add_f32 v96, v96, v97 :: v_dual_add_f32 v95, v95, v98
	v_fmamk_f32 v98, v78, 0x3dbcf732, v99
	s_delay_alu instid0(VALU_DEP_1) | instskip(SKIP_1) | instid1(VALU_DEP_1)
	v_add_f32_e32 v95, v95, v98
	v_fmamk_f32 v98, v79, 0x3f3d2fb0, v101
	v_add_f32_e32 v95, v95, v98
	v_fma_f32 v97, 0xbf59a7d5, v75, -v104
	v_fmamk_f32 v98, v80, 0xbe8c1d8e, v100
	v_fmamk_f32 v104, v77, 0xbf59a7d5, v103
	v_fma_f32 v103, 0xbf59a7d5, v77, -v103
	s_delay_alu instid0(VALU_DEP_4) | instskip(SKIP_2) | instid1(VALU_DEP_2)
	v_add_f32_e32 v96, v96, v97
	v_fma_f32 v97, 0x3dbcf732, v78, -v99
	v_dual_add_f32 v98, v20, v98 :: v_dual_fmamk_f32 v99, v74, 0x3f3d2fb0, v106
	v_add_f32_e32 v96, v96, v97
	v_fma_f32 v97, 0x3f3d2fb0, v79, -v101
	v_mul_f32_e32 v101, 0xbe3c28d5, v84
	s_delay_alu instid0(VALU_DEP_4) | instskip(NEXT) | instid1(VALU_DEP_1)
	v_dual_fmamk_f32 v105, v81, 0xbf7ba420, v102 :: v_dual_add_f32 v98, v98, v104
	v_dual_mul_f32 v104, 0xbf65296c, v83 :: v_dual_add_f32 v95, v95, v105
	s_delay_alu instid0(VALU_DEP_2) | instskip(NEXT) | instid1(VALU_DEP_2)
	v_dual_mul_f32 v105, 0x3f65296c, v94 :: v_dual_add_f32 v98, v98, v99
	v_fmamk_f32 v99, v75, 0x3ee437d1, v104
	s_delay_alu instid0(VALU_DEP_2) | instskip(SKIP_1) | instid1(VALU_DEP_2)
	v_fmamk_f32 v107, v82, 0x3ee437d1, v105
	v_fma_f32 v105, 0x3ee437d1, v82, -v105
	v_add_f32_e32 v95, v95, v107
	s_delay_alu instid0(VALU_DEP_4) | instskip(SKIP_4) | instid1(VALU_DEP_3)
	v_dual_mul_f32 v107, 0xbf7ee86f, v85 :: v_dual_add_f32 v98, v98, v99
	v_dual_fmamk_f32 v99, v78, 0xbf7ba420, v101 :: v_dual_add_f32 v96, v96, v97
	v_fma_f32 v97, 0xbf7ba420, v81, -v102
	v_mul_f32_e32 v102, 0x3f7ee86f, v88
	v_fma_f32 v101, 0xbf7ba420, v78, -v101
	v_dual_add_f32 v96, v96, v97 :: v_dual_add_f32 v97, v98, v99
	v_fma_f32 v100, 0xbe8c1d8e, v80, -v100
	s_delay_alu instid0(VALU_DEP_4) | instskip(NEXT) | instid1(VALU_DEP_2)
	v_fmamk_f32 v98, v79, 0x3dbcf732, v102
	v_dual_mul_f32 v99, 0xbeb8f4ab, v89 :: v_dual_add_f32 v100, v20, v100
	s_delay_alu instid0(VALU_DEP_2) | instskip(NEXT) | instid1(VALU_DEP_2)
	v_add_f32_e32 v97, v97, v98
	v_fmamk_f32 v98, v81, 0x3f6eb680, v99
	v_fma_f32 v99, 0x3f6eb680, v81, -v99
	s_delay_alu instid0(VALU_DEP_4) | instskip(SKIP_1) | instid1(VALU_DEP_4)
	v_add_f32_e32 v100, v100, v103
	v_fma_f32 v103, 0x3f3d2fb0, v74, -v106
	v_dual_add_f32 v97, v97, v98 :: v_dual_fmamk_f32 v98, v80, 0x3dbcf732, v107
	s_delay_alu instid0(VALU_DEP_2) | instskip(SKIP_2) | instid1(VALU_DEP_4)
	v_add_f32_e32 v100, v100, v103
	v_fma_f32 v103, 0x3ee437d1, v75, -v104
	v_mul_f32_e32 v104, 0xbf4c4adb, v94
	v_add_f32_e32 v98, v20, v98
	s_delay_alu instid0(VALU_DEP_2) | instskip(SKIP_1) | instid1(VALU_DEP_2)
	v_dual_add_f32 v100, v100, v103 :: v_dual_fmamk_f32 v103, v82, 0xbf1a4643, v104
	v_fma_f32 v104, 0xbf1a4643, v82, -v104
	v_add_f32_e32 v100, v100, v101
	v_fma_f32 v101, 0x3dbcf732, v79, -v102
	s_delay_alu instid0(VALU_DEP_4) | instskip(NEXT) | instid1(VALU_DEP_2)
	v_dual_fmamk_f32 v102, v75, 0x3f6eb680, v109 :: v_dual_add_f32 v97, v97, v103
	v_dual_mul_f32 v103, 0xbf65296c, v84 :: v_dual_add_f32 v100, v100, v101
	v_fma_f32 v101, 0x3dbcf732, v80, -v107
	v_mul_f32_e32 v107, 0xbf65296c, v85
	s_delay_alu instid0(VALU_DEP_3) | instskip(NEXT) | instid1(VALU_DEP_1)
	v_add_f32_e32 v99, v100, v99
	v_dual_add_f32 v100, v20, v101 :: v_dual_add_f32 v99, v99, v104
	v_mul_f32_e32 v104, 0xbf4c4adb, v86
	v_dual_add_f32 v96, v96, v105 :: v_dual_mul_f32 v105, 0xbe3c28d5, v86
	s_delay_alu instid0(VALU_DEP_1) | instskip(SKIP_2) | instid1(VALU_DEP_3)
	v_fma_f32 v101, 0xbf7ba420, v77, -v105
	v_fmamk_f32 v106, v77, 0xbf7ba420, v105
	v_mul_f32_e32 v105, 0x3f4c4adb, v89
	v_add_f32_e32 v100, v100, v101
	v_fma_f32 v101, 0xbe8c1d8e, v74, -v108
	s_delay_alu instid0(VALU_DEP_1) | instskip(SKIP_4) | instid1(VALU_DEP_4)
	v_add_f32_e32 v100, v100, v101
	v_fma_f32 v101, 0x3f6eb680, v75, -v109
	v_dual_mul_f32 v109, 0x3e3c28d5, v87 :: v_dual_add_f32 v98, v98, v106
	v_fmamk_f32 v106, v74, 0xbe8c1d8e, v108
	v_mul_f32_e32 v108, 0x3f2c7751, v94
	v_add_f32_e32 v100, v100, v101
	v_fma_f32 v101, 0x3ee437d1, v78, -v103
	s_delay_alu instid0(VALU_DEP_4) | instskip(SKIP_2) | instid1(VALU_DEP_4)
	v_dual_mul_f32 v87, 0xbf65296c, v87 :: v_dual_add_f32 v98, v98, v106
	v_mul_f32_e32 v106, 0xbf06c442, v88
	v_fmamk_f32 v110, v82, 0x3f3d2fb0, v108
	v_add_f32_e32 v100, v100, v101
	v_fma_f32 v108, 0x3f3d2fb0, v82, -v108
	v_add_f32_e32 v98, v98, v102
	v_fmamk_f32 v102, v78, 0x3ee437d1, v103
	v_fma_f32 v101, 0xbf59a7d5, v79, -v106
	v_fmamk_f32 v103, v77, 0xbf1a4643, v104
	v_fma_f32 v104, 0xbf1a4643, v77, -v104
	s_delay_alu instid0(VALU_DEP_4) | instskip(SKIP_4) | instid1(VALU_DEP_4)
	v_add_f32_e32 v98, v98, v102
	v_fmamk_f32 v102, v79, 0xbf59a7d5, v106
	v_add_f32_e32 v100, v100, v101
	v_fma_f32 v101, 0x3ee437d1, v80, -v107
	v_mul_f32_e32 v106, 0x3f763a35, v83
	v_add_f32_e32 v98, v98, v102
	s_delay_alu instid0(VALU_DEP_3) | instskip(SKIP_1) | instid1(VALU_DEP_2)
	v_dual_fmamk_f32 v102, v81, 0xbf1a4643, v105 :: v_dual_add_f32 v101, v20, v101
	v_fma_f32 v105, 0xbf1a4643, v81, -v105
	v_add_f32_e32 v98, v98, v102
	s_delay_alu instid0(VALU_DEP_3) | instskip(SKIP_1) | instid1(VALU_DEP_4)
	v_dual_fmamk_f32 v102, v80, 0x3ee437d1, v107 :: v_dual_add_f32 v101, v101, v104
	v_fma_f32 v104, 0xbf7ba420, v74, -v109
	v_dual_mul_f32 v107, 0x3f2c7751, v84 :: v_dual_add_f32 v100, v100, v105
	s_delay_alu instid0(VALU_DEP_3) | instskip(NEXT) | instid1(VALU_DEP_3)
	v_add_f32_e32 v102, v20, v102
	v_dual_add_f32 v98, v98, v110 :: v_dual_add_f32 v101, v101, v104
	v_fma_f32 v104, 0xbe8c1d8e, v75, -v106
	v_mul_f32_e32 v110, 0xbeb8f4ab, v88
	s_delay_alu instid0(VALU_DEP_4) | instskip(SKIP_1) | instid1(VALU_DEP_4)
	v_add_f32_e32 v102, v102, v103
	v_dual_fmamk_f32 v103, v74, 0xbf7ba420, v109 :: v_dual_add_f32 v100, v100, v108
	v_add_f32_e32 v101, v101, v104
	v_fma_f32 v104, 0x3f3d2fb0, v78, -v107
	v_mul_f32_e32 v108, 0xbf7ee86f, v86
	s_delay_alu instid0(VALU_DEP_4)
	v_dual_add_f32 v102, v102, v103 :: v_dual_fmamk_f32 v103, v75, 0xbe8c1d8e, v106
	v_mul_f32_e32 v106, 0xbf2c7751, v85
	v_mul_f32_e32 v105, 0xbf7ee86f, v89
	v_add_f32_e32 v101, v101, v104
	v_fma_f32 v104, 0x3f6eb680, v79, -v110
	v_add_f32_e32 v102, v102, v103
	v_fmamk_f32 v103, v78, 0x3f3d2fb0, v107
	v_fmamk_f32 v107, v80, 0x3f3d2fb0, v106
	v_mul_f32_e32 v85, 0xbeb8f4ab, v85
	v_add_f32_e32 v101, v101, v104
	v_fma_f32 v104, 0x3dbcf732, v81, -v105
	v_dual_add_f32 v102, v102, v103 :: v_dual_fmamk_f32 v103, v79, 0x3f6eb680, v110
	v_dual_add_f32 v107, v20, v107 :: v_dual_fmamk_f32 v110, v77, 0x3dbcf732, v108
	s_delay_alu instid0(VALU_DEP_3) | instskip(NEXT) | instid1(VALU_DEP_3)
	v_dual_add_f32 v101, v101, v104 :: v_dual_mul_f32 v86, 0xbf2c7751, v86
	v_dual_add_f32 v102, v102, v103 :: v_dual_fmamk_f32 v103, v81, 0x3dbcf732, v105
	v_fma_f32 v105, 0x3f3d2fb0, v80, -v106
	s_delay_alu instid0(VALU_DEP_4) | instskip(SKIP_1) | instid1(VALU_DEP_4)
	v_dual_add_f32 v106, v107, v110 :: v_dual_fmamk_f32 v107, v74, 0xbf1a4643, v111
	v_mul_f32_e32 v110, 0xbe3c28d5, v83
	v_add_f32_e32 v102, v102, v103
	s_delay_alu instid0(VALU_DEP_4) | instskip(SKIP_1) | instid1(VALU_DEP_4)
	v_add_f32_e32 v104, v20, v105
	v_fma_f32 v105, 0x3dbcf732, v77, -v108
	v_dual_add_f32 v106, v106, v107 :: v_dual_fmamk_f32 v107, v75, 0xbf7ba420, v110
	v_mul_f32_e32 v103, 0xbf06c442, v94
	v_mul_f32_e32 v108, 0x3f06c442, v84
	s_delay_alu instid0(VALU_DEP_4) | instskip(SKIP_4) | instid1(VALU_DEP_4)
	v_add_f32_e32 v104, v104, v105
	v_fma_f32 v105, 0xbf1a4643, v74, -v111
	v_dual_add_f32 v106, v106, v107 :: v_dual_add_f32 v107, v20, v36
	v_fmamk_f32 v109, v82, 0xbf59a7d5, v103
	v_fma_f32 v103, 0xbf59a7d5, v82, -v103
	v_add_f32_e32 v104, v104, v105
	v_fma_f32 v105, 0xbf7ba420, v75, -v110
	v_add_f32_e32 v107, v107, v34
	v_fmamk_f32 v111, v78, 0xbf59a7d5, v108
	v_dual_add_f32 v101, v101, v103 :: v_dual_fmamk_f32 v110, v79, 0xbe8c1d8e, v112
	s_delay_alu instid0(VALU_DEP_3) | instskip(SKIP_1) | instid1(VALU_DEP_4)
	v_dual_add_f32 v104, v104, v105 :: v_dual_add_f32 v105, v107, v26
	v_fma_f32 v107, 0xbf59a7d5, v78, -v108
	v_dual_add_f32 v106, v106, v111 :: v_dual_mul_f32 v111, 0x3f65296c, v89
	v_mul_f32_e32 v83, 0xbf7ee86f, v83
	s_delay_alu instid0(VALU_DEP_3) | instskip(SKIP_1) | instid1(VALU_DEP_4)
	v_dual_add_f32 v103, v105, v22 :: v_dual_add_f32 v104, v104, v107
	v_fma_f32 v105, 0xbe8c1d8e, v79, -v112
	v_add_f32_e32 v106, v106, v110
	v_fma_f32 v110, 0x3f6eb680, v80, -v85
	s_delay_alu instid0(VALU_DEP_4) | instskip(NEXT) | instid1(VALU_DEP_4)
	v_dual_add_f32 v103, v103, v16 :: v_dual_fmamk_f32 v80, v80, 0x3f6eb680, v85
	v_add_f32_e32 v104, v104, v105
	v_fma_f32 v105, 0x3ee437d1, v81, -v111
	v_mul_f32_e32 v84, 0xbf763a35, v84
	s_delay_alu instid0(VALU_DEP_4)
	v_add_f32_e32 v103, v103, v12
	v_mul_f32_e32 v107, 0x3eb8f4ab, v94
	v_fmamk_f32 v108, v81, 0x3ee437d1, v111
	v_add_f32_e32 v104, v104, v105
	v_fma_f32 v105, 0x3f3d2fb0, v77, -v86
	v_add_f32_e32 v85, v103, v4
	v_add_f32_e32 v103, v20, v110
	v_dual_add_f32 v20, v20, v80 :: v_dual_fmamk_f32 v77, v77, 0x3f3d2fb0, v86
	v_fma_f32 v86, 0x3ee437d1, v74, -v87
	s_delay_alu instid0(VALU_DEP_3) | instskip(SKIP_1) | instid1(VALU_DEP_4)
	v_dual_add_f32 v80, v85, v0 :: v_dual_add_f32 v85, v103, v105
	v_fmamk_f32 v74, v74, 0x3ee437d1, v87
	v_add_f32_e32 v20, v20, v77
	v_add_f32_e32 v106, v106, v108
	s_delay_alu instid0(VALU_DEP_4)
	v_add_f32_e32 v80, v80, v2
	v_add_f32_e32 v77, v85, v86
	v_fma_f32 v85, 0x3dbcf732, v75, -v83
	v_add_f32_e32 v20, v20, v74
	v_fmamk_f32 v74, v75, 0x3dbcf732, v83
	v_add_f32_e32 v80, v6, v80
	v_mul_f32_e32 v83, 0xbf4c4adb, v88
	v_dual_add_f32 v75, v77, v85 :: v_dual_fmamk_f32 v108, v82, 0x3f6eb680, v107
	s_delay_alu instid0(VALU_DEP_3) | instskip(SKIP_3) | instid1(VALU_DEP_4)
	v_dual_add_f32 v20, v20, v74 :: v_dual_add_f32 v77, v14, v80
	v_fma_f32 v80, 0xbe8c1d8e, v78, -v84
	v_fmamk_f32 v74, v78, 0xbe8c1d8e, v84
	v_fma_f32 v78, 0xbf1a4643, v79, -v83
	v_add_f32_e32 v77, v18, v77
	s_delay_alu instid0(VALU_DEP_4) | instskip(NEXT) | instid1(VALU_DEP_4)
	v_dual_add_f32 v75, v75, v80 :: v_dual_mul_f32 v80, 0xbf06c442, v89
	v_add_f32_e32 v20, v20, v74
	s_delay_alu instid0(VALU_DEP_3) | instskip(NEXT) | instid1(VALU_DEP_3)
	v_dual_add_f32 v74, v24, v77 :: v_dual_fmamk_f32 v77, v79, 0xbf1a4643, v83
	v_add_f32_e32 v75, v75, v78
	s_delay_alu instid0(VALU_DEP_4) | instskip(SKIP_1) | instid1(VALU_DEP_4)
	v_fma_f32 v78, 0xbf59a7d5, v81, -v80
	v_mul_f32_e32 v79, 0xbe3c28d5, v94
	v_add_f32_e32 v74, v28, v74
	v_dual_add_f32 v20, v20, v77 :: v_dual_fmamk_f32 v77, v81, 0xbf59a7d5, v80
	v_add_f32_e32 v81, v106, v108
	v_add_f32_e32 v75, v75, v78
	v_fma_f32 v78, 0xbf7ba420, v82, -v79
	v_add_f32_e32 v74, v32, v74
	v_fma_f32 v80, 0x3f6eb680, v82, -v107
	v_dual_add_f32 v20, v20, v77 :: v_dual_fmamk_f32 v77, v82, 0xbf7ba420, v79
	s_delay_alu instid0(VALU_DEP_4) | instskip(NEXT) | instid1(VALU_DEP_4)
	v_add_f32_e32 v75, v75, v78
	v_add_f32_e32 v74, v30, v74
	v_add3_u32 v78, 0, v72, v62
	v_dual_add_f32 v79, v104, v80 :: v_dual_add_f32 v80, v102, v109
	v_add_f32_e32 v20, v20, v77
	ds_store_2addr_b32 v78, v74, v75 offset1:1
	ds_store_2addr_b32 v78, v79, v101 offset0:2 offset1:3
	ds_store_2addr_b32 v78, v100, v99 offset0:4 offset1:5
	;; [unrolled: 1-line block ×7, first 2 shown]
	ds_store_b32 v78, v20 offset:64
.LBB0_16:
	s_wait_alu 0xfffe
	s_or_b32 exec_lo, exec_lo, s1
	v_sub_f32_e32 v64, v70, v64
	v_add_f32_e32 v20, v63, v71
	v_add_f32_e32 v70, v71, v65
	v_dual_add_f32 v71, v67, v69 :: v_dual_sub_f32 v66, v68, v66
	s_delay_alu instid0(VALU_DEP_3) | instskip(SKIP_3) | instid1(VALU_DEP_4)
	v_dual_mul_f32 v77, 0xbf763a35, v64 :: v_dual_add_f32 v20, v20, v69
	v_mul_f32_e32 v79, 0xbf06c442, v64
	v_mul_f32_e32 v69, 0xbf2c7751, v64
	;; [unrolled: 1-line block ×3, first 2 shown]
	v_dual_mul_f32 v75, 0xbf7ee86f, v64 :: v_dual_add_f32 v20, v20, v59
	v_mul_f32_e32 v81, 0xbf7ee86f, v66
	v_fmamk_f32 v91, v70, 0xbf59a7d5, v79
	v_fmamk_f32 v86, v70, 0x3f3d2fb0, v69
	v_fma_f32 v69, 0x3f3d2fb0, v70, -v69
	v_dual_add_f32 v20, v20, v55 :: v_dual_fmamk_f32 v85, v70, 0x3f6eb680, v68
	v_mul_f32_e32 v74, 0xbf65296c, v64
	v_fma_f32 v79, 0xbf59a7d5, v70, -v79
	s_delay_alu instid0(VALU_DEP_4) | instskip(NEXT) | instid1(VALU_DEP_4)
	v_add_f32_e32 v69, v69, v63
	v_add_f32_e32 v20, v20, v51
	;; [unrolled: 1-line block ×3, first 2 shown]
	v_fmamk_f32 v87, v70, 0x3ee437d1, v74
	v_mul_f32_e32 v78, 0xbf4c4adb, v64
	s_delay_alu instid0(VALU_DEP_4) | instskip(SKIP_2) | instid1(VALU_DEP_3)
	v_dual_fmamk_f32 v89, v70, 0xbe8c1d8e, v77 :: v_dual_add_f32 v20, v20, v47
	v_dual_mul_f32 v64, 0xbe3c28d5, v64 :: v_dual_mul_f32 v83, 0xbe3c28d5, v66
	v_fma_f32 v68, 0x3f6eb680, v70, -v68
	v_dual_fmamk_f32 v93, v71, 0x3dbcf732, v81 :: v_dual_add_f32 v20, v20, v43
	v_fma_f32 v81, 0x3dbcf732, v71, -v81
	v_add_f32_e32 v87, v87, v63
	s_delay_alu instid0(VALU_DEP_4) | instskip(SKIP_1) | instid1(VALU_DEP_4)
	v_add_f32_e32 v68, v68, v63
	v_fmamk_f32 v92, v70, 0xbf7ba420, v64
	v_dual_add_f32 v20, v20, v39 :: v_dual_add_f32 v69, v69, v81
	v_fma_f32 v64, 0xbf7ba420, v70, -v64
	v_fmamk_f32 v90, v70, 0xbf1a4643, v78
	v_fma_f32 v74, 0x3ee437d1, v70, -v74
	s_delay_alu instid0(VALU_DEP_4) | instskip(SKIP_1) | instid1(VALU_DEP_4)
	v_add_f32_e32 v20, v20, v41
	v_dual_fmamk_f32 v88, v70, 0x3dbcf732, v75 :: v_dual_add_f32 v79, v79, v63
	v_dual_add_f32 v90, v90, v63 :: v_dual_mul_f32 v81, 0x3f763a35, v66
	s_delay_alu instid0(VALU_DEP_3) | instskip(SKIP_2) | instid1(VALU_DEP_3)
	v_add_f32_e32 v20, v20, v45
	v_dual_add_f32 v74, v74, v63 :: v_dual_add_f32 v59, v59, v61
	v_dual_mul_f32 v82, 0xbf4c4adb, v66 :: v_dual_add_f32 v89, v89, v63
	v_add_f32_e32 v20, v20, v49
	v_fma_f32 v75, 0x3dbcf732, v70, -v75
	v_mul_f32_e32 v80, 0xbf2c7751, v66
	v_fma_f32 v77, 0xbe8c1d8e, v70, -v77
	v_mul_f32_e32 v84, 0x3f06c442, v66
	v_add_f32_e32 v20, v20, v53
	v_fma_f32 v78, 0xbf1a4643, v70, -v78
	v_add_f32_e32 v75, v75, v63
	v_dual_add_f32 v77, v77, v63 :: v_dual_fmamk_f32 v94, v71, 0xbf1a4643, v82
	s_delay_alu instid0(VALU_DEP_4)
	v_add_f32_e32 v20, v20, v57
	v_fma_f32 v82, 0xbf1a4643, v71, -v82
	v_fmamk_f32 v70, v71, 0x3f3d2fb0, v80
	v_fma_f32 v80, 0x3f3d2fb0, v71, -v80
	v_sub_f32_e32 v58, v58, v60
	v_add_f32_e32 v20, v20, v61
	v_add_f32_e32 v78, v78, v63
	v_add_f32_e32 v88, v88, v63
	v_add_f32_e32 v91, v91, v63
	s_delay_alu instid0(VALU_DEP_4)
	v_dual_mul_f32 v61, 0xbf65296c, v58 :: v_dual_add_f32 v20, v20, v67
	v_add_f32_e32 v67, v68, v80
	v_add_f32_e32 v92, v92, v63
	v_sub_f32_e32 v50, v50, v52
	v_sub_f32_e32 v38, v38, v40
	v_add_f32_e32 v80, v20, v65
	v_dual_fmamk_f32 v20, v71, 0xbf7ba420, v83 :: v_dual_add_f32 v65, v74, v82
	v_fma_f32 v74, 0xbf7ba420, v71, -v83
	v_fma_f32 v83, 0xbf59a7d5, v71, -v84
	v_add_f32_e32 v55, v55, v57
	v_fmamk_f32 v82, v71, 0xbf59a7d5, v84
	v_sub_f32_e32 v54, v54, v56
	v_add_f32_e32 v74, v75, v74
	v_fmamk_f32 v75, v71, 0xbe8c1d8e, v81
	v_fma_f32 v81, 0xbe8c1d8e, v71, -v81
	v_add_f32_e32 v77, v77, v83
	v_mul_f32_e32 v83, 0x3f65296c, v66
	v_mul_f32_e32 v66, 0x3eb8f4ab, v66
	v_add_f32_e32 v86, v86, v63
	v_dual_add_f32 v63, v64, v63 :: v_dual_add_f32 v78, v78, v81
	s_delay_alu instid0(VALU_DEP_4)
	v_fmamk_f32 v60, v71, 0x3ee437d1, v83
	v_fma_f32 v81, 0x3ee437d1, v71, -v83
	v_fmamk_f32 v83, v71, 0x3f6eb680, v66
	v_fma_f32 v66, 0x3f6eb680, v71, -v66
	v_add_f32_e32 v64, v85, v70
	global_wb scope:SCOPE_SE
	s_wait_dscnt 0x0
	v_add_f32_e32 v71, v79, v81
	v_add_f32_e32 v79, v92, v83
	v_fmamk_f32 v81, v59, 0x3ee437d1, v61
	v_add_f32_e32 v63, v63, v66
	v_fma_f32 v61, 0x3ee437d1, v59, -v61
	v_mul_f32_e32 v66, 0x3e3c28d5, v58
	v_dual_add_f32 v68, v86, v93 :: v_dual_mul_f32 v83, 0xbf4c4adb, v58
	v_add_f32_e32 v64, v81, v64
	s_delay_alu instid0(VALU_DEP_4) | instskip(NEXT) | instid1(VALU_DEP_4)
	v_add_f32_e32 v61, v61, v67
	v_fmamk_f32 v67, v59, 0xbf7ba420, v66
	v_fma_f32 v66, 0xbf7ba420, v59, -v66
	v_add_f32_e32 v70, v87, v94
	v_fmamk_f32 v81, v59, 0xbf1a4643, v83
	v_fma_f32 v83, 0xbf1a4643, v59, -v83
	s_delay_alu instid0(VALU_DEP_4) | instskip(SKIP_1) | instid1(VALU_DEP_3)
	v_dual_add_f32 v20, v88, v20 :: v_dual_add_f32 v65, v66, v65
	v_mul_f32_e32 v84, 0x3f763a35, v58
	v_dual_mul_f32 v66, 0xbeb8f4ab, v58 :: v_dual_add_f32 v69, v83, v69
	v_dual_add_f32 v67, v67, v70 :: v_dual_add_f32 v68, v81, v68
	v_mul_f32_e32 v57, 0xbf7ee86f, v54
	s_delay_alu instid0(VALU_DEP_4)
	v_fma_f32 v83, 0xbe8c1d8e, v59, -v84
	v_add_f32_e32 v75, v90, v75
	s_wait_kmcnt 0x0
	s_barrier_signal -1
	s_barrier_wait -1
	global_inv scope:SCOPE_SE
	v_add_f32_e32 v74, v83, v74
	v_fmamk_f32 v70, v59, 0xbe8c1d8e, v84
	v_fmamk_f32 v83, v59, 0x3f6eb680, v66
	v_mul_f32_e32 v84, 0xbf7ee86f, v58
	v_mul_f32_e32 v81, 0x3f2c7751, v58
	v_fma_f32 v66, 0x3f6eb680, v59, -v66
	v_mul_f32_e32 v58, 0xbf06c442, v58
	v_add_f32_e32 v20, v70, v20
	v_fma_f32 v56, 0x3dbcf732, v59, -v84
	v_add_f32_e32 v75, v83, v75
	v_dual_add_f32 v47, v47, v49 :: v_dual_sub_f32 v46, v46, v48
	s_delay_alu instid0(VALU_DEP_3)
	v_dual_add_f32 v51, v51, v53 :: v_dual_add_f32 v56, v56, v71
	v_fmamk_f32 v70, v59, 0x3f3d2fb0, v81
	v_fma_f32 v81, 0x3f3d2fb0, v59, -v81
	v_mul_f32_e32 v71, 0xbe3c28d5, v54
	v_add_f32_e32 v66, v66, v78
	v_fmamk_f32 v78, v59, 0xbf59a7d5, v58
	v_fma_f32 v58, 0xbf59a7d5, v59, -v58
	v_add_f32_e32 v77, v81, v77
	v_fmamk_f32 v81, v59, 0x3dbcf732, v84
	v_mul_f32_e32 v53, 0xbf763a35, v50
	v_dual_add_f32 v59, v78, v79 :: v_dual_fmamk_f32 v78, v55, 0x3dbcf732, v57
	v_fma_f32 v57, 0x3dbcf732, v55, -v57
	v_dual_add_f32 v58, v58, v63 :: v_dual_mul_f32 v63, 0x3f763a35, v54
	s_delay_alu instid0(VALU_DEP_3) | instskip(NEXT) | instid1(VALU_DEP_3)
	v_dual_fmamk_f32 v79, v55, 0xbf7ba420, v71 :: v_dual_add_f32 v64, v78, v64
	v_add_f32_e32 v57, v57, v61
	v_fma_f32 v61, 0xbf7ba420, v55, -v71
	s_delay_alu instid0(VALU_DEP_4) | instskip(NEXT) | instid1(VALU_DEP_4)
	v_fmamk_f32 v71, v55, 0xbe8c1d8e, v63
	v_add_f32_e32 v68, v79, v68
	v_fma_f32 v63, 0xbe8c1d8e, v55, -v63
	v_add_f32_e32 v82, v89, v82
	v_dual_add_f32 v61, v61, v69 :: v_dual_add_f32 v60, v91, v60
	v_mul_f32_e32 v69, 0xbf65296c, v54
	v_add_f32_e32 v67, v71, v67
	v_add_f32_e32 v63, v63, v65
	s_delay_alu instid0(VALU_DEP_4) | instskip(NEXT) | instid1(VALU_DEP_4)
	v_dual_add_f32 v43, v43, v45 :: v_dual_add_f32 v60, v81, v60
	v_fmamk_f32 v79, v55, 0x3ee437d1, v69
	v_fma_f32 v69, 0x3ee437d1, v55, -v69
	v_dual_sub_f32 v42, v42, v44 :: v_dual_mul_f32 v49, 0xbf4c4adb, v46
	s_delay_alu instid0(VALU_DEP_2) | instskip(SKIP_1) | instid1(VALU_DEP_3)
	v_dual_add_f32 v69, v69, v77 :: v_dual_mul_f32 v78, 0x3eb8f4ab, v54
	v_mul_f32_e32 v77, 0x3f4c4adb, v54
	v_mul_f32_e32 v45, 0xbf06c442, v42
	s_delay_alu instid0(VALU_DEP_3) | instskip(SKIP_4) | instid1(VALU_DEP_4)
	v_fmamk_f32 v71, v55, 0x3f6eb680, v78
	v_fma_f32 v65, 0x3f6eb680, v55, -v78
	v_mul_f32_e32 v78, 0xbf06c442, v54
	v_mul_f32_e32 v54, 0x3f2c7751, v54
	v_fmamk_f32 v52, v55, 0xbf1a4643, v77
	v_dual_add_f32 v20, v71, v20 :: v_dual_add_f32 v65, v65, v74
	s_delay_alu instid0(VALU_DEP_4) | instskip(NEXT) | instid1(VALU_DEP_1)
	v_fma_f32 v74, 0xbf59a7d5, v55, -v78
	v_dual_fmamk_f32 v71, v55, 0xbf59a7d5, v78 :: v_dual_add_f32 v66, v74, v66
	v_fma_f32 v74, 0xbf1a4643, v55, -v77
	s_delay_alu instid0(VALU_DEP_2) | instskip(SKIP_2) | instid1(VALU_DEP_4)
	v_add_f32_e32 v71, v71, v75
	v_fmamk_f32 v75, v55, 0x3f3d2fb0, v54
	v_fma_f32 v54, 0x3f3d2fb0, v55, -v54
	v_add_f32_e32 v55, v74, v56
	v_add_f32_e32 v70, v70, v82
	s_delay_alu instid0(VALU_DEP_4)
	v_add_f32_e32 v56, v75, v59
	v_fmamk_f32 v59, v51, 0xbe8c1d8e, v53
	v_fma_f32 v53, 0xbe8c1d8e, v51, -v53
	v_mul_f32_e32 v74, 0xbf65296c, v50
	v_add_f32_e32 v54, v54, v58
	v_mul_f32_e32 v58, 0x3f2c7751, v50
	v_add_f32_e32 v52, v52, v60
	v_dual_mul_f32 v60, 0x3f06c442, v50 :: v_dual_add_f32 v59, v59, v64
	v_add_f32_e32 v53, v53, v57
	s_delay_alu instid0(VALU_DEP_4) | instskip(SKIP_1) | instid1(VALU_DEP_4)
	v_fmamk_f32 v57, v51, 0x3f3d2fb0, v58
	v_fma_f32 v58, 0x3f3d2fb0, v51, -v58
	v_fmamk_f32 v64, v51, 0xbf59a7d5, v60
	v_fma_f32 v60, 0xbf59a7d5, v51, -v60
	s_delay_alu instid0(VALU_DEP_4) | instskip(NEXT) | instid1(VALU_DEP_3)
	v_add_f32_e32 v57, v57, v67
	v_dual_mul_f32 v67, 0xbe3c28d5, v50 :: v_dual_add_f32 v64, v64, v68
	s_delay_alu instid0(VALU_DEP_3) | instskip(SKIP_3) | instid1(VALU_DEP_3)
	v_dual_add_f32 v60, v60, v61 :: v_dual_fmamk_f32 v61, v51, 0x3ee437d1, v74
	v_fma_f32 v68, 0x3ee437d1, v51, -v74
	v_mul_f32_e32 v74, 0xbeb8f4ab, v50
	v_dual_add_f32 v58, v58, v63 :: v_dual_mul_f32 v63, 0x3f7ee86f, v50
	v_dual_mul_f32 v50, 0xbf4c4adb, v50 :: v_dual_add_f32 v65, v68, v65
	s_delay_alu instid0(VALU_DEP_3) | instskip(NEXT) | instid1(VALU_DEP_3)
	v_fma_f32 v48, 0x3f6eb680, v51, -v74
	v_fmamk_f32 v68, v51, 0x3dbcf732, v63
	v_fma_f32 v63, 0x3dbcf732, v51, -v63
	v_dual_add_f32 v20, v61, v20 :: v_dual_fmamk_f32 v61, v51, 0xbf7ba420, v67
	v_fma_f32 v67, 0xbf7ba420, v51, -v67
	v_dual_add_f32 v48, v48, v55 :: v_dual_mul_f32 v55, 0x3f763a35, v46
	s_delay_alu instid0(VALU_DEP_4) | instskip(SKIP_1) | instid1(VALU_DEP_4)
	v_add_f32_e32 v63, v63, v66
	v_fmamk_f32 v66, v51, 0xbf1a4643, v50
	v_add_f32_e32 v67, v67, v69
	v_fmamk_f32 v69, v51, 0x3f6eb680, v74
	v_add_f32_e32 v70, v79, v70
	v_fma_f32 v50, 0xbf1a4643, v51, -v50
	v_dual_add_f32 v51, v66, v56 :: v_dual_fmamk_f32 v56, v47, 0xbf1a4643, v49
	s_delay_alu instid0(VALU_DEP_4) | instskip(SKIP_1) | instid1(VALU_DEP_4)
	v_add_f32_e32 v52, v69, v52
	v_fma_f32 v49, 0xbf1a4643, v47, -v49
	v_add_f32_e32 v50, v50, v54
	v_fmamk_f32 v66, v47, 0xbe8c1d8e, v55
	v_add_f32_e32 v56, v56, v59
	s_delay_alu instid0(VALU_DEP_4) | instskip(SKIP_3) | instid1(VALU_DEP_4)
	v_dual_mul_f32 v54, 0xbeb8f4ab, v46 :: v_dual_add_f32 v49, v49, v53
	v_fma_f32 v53, 0xbe8c1d8e, v47, -v55
	v_add_f32_e32 v61, v61, v70
	v_add_f32_e32 v59, v66, v64
	v_fmamk_f32 v55, v47, 0x3f6eb680, v54
	v_fma_f32 v54, 0x3f6eb680, v47, -v54
	v_add_f32_e32 v53, v53, v60
	s_delay_alu instid0(VALU_DEP_3) | instskip(SKIP_1) | instid1(VALU_DEP_4)
	v_add_f32_e32 v55, v55, v57
	v_mul_f32_e32 v57, 0x3f7ee86f, v46
	v_add_f32_e32 v54, v54, v58
	s_delay_alu instid0(VALU_DEP_2) | instskip(SKIP_1) | instid1(VALU_DEP_2)
	v_fmamk_f32 v66, v47, 0x3dbcf732, v57
	v_fma_f32 v57, 0x3dbcf732, v47, -v57
	v_dual_add_f32 v61, v66, v61 :: v_dual_mul_f32 v64, 0xbf06c442, v46
	s_delay_alu instid0(VALU_DEP_2) | instskip(SKIP_1) | instid1(VALU_DEP_3)
	v_add_f32_e32 v57, v57, v67
	v_add_f32_e32 v68, v68, v71
	v_fmamk_f32 v60, v47, 0xbf59a7d5, v64
	v_fma_f32 v58, 0xbf59a7d5, v47, -v64
	v_mul_f32_e32 v64, 0xbf2c7751, v46
	s_delay_alu instid0(VALU_DEP_3) | instskip(NEXT) | instid1(VALU_DEP_3)
	v_add_f32_e32 v20, v60, v20
	v_add_f32_e32 v58, v58, v65
	s_delay_alu instid0(VALU_DEP_3) | instskip(SKIP_2) | instid1(VALU_DEP_2)
	v_fmamk_f32 v60, v47, 0x3f3d2fb0, v64
	v_fma_f32 v64, 0x3f3d2fb0, v47, -v64
	v_mul_f32_e32 v65, 0xbe3c28d5, v46
	v_dual_mul_f32 v46, 0x3f65296c, v46 :: v_dual_add_f32 v63, v64, v63
	s_delay_alu instid0(VALU_DEP_2) | instskip(SKIP_1) | instid1(VALU_DEP_3)
	v_fmamk_f32 v44, v47, 0xbf7ba420, v65
	v_fma_f32 v64, 0xbf7ba420, v47, -v65
	v_fmamk_f32 v65, v47, 0x3ee437d1, v46
	v_fma_f32 v46, 0x3ee437d1, v47, -v46
	s_delay_alu instid0(VALU_DEP_4) | instskip(NEXT) | instid1(VALU_DEP_3)
	v_add_f32_e32 v44, v44, v52
	v_dual_add_f32 v47, v64, v48 :: v_dual_add_f32 v48, v65, v51
	v_fmamk_f32 v51, v43, 0xbf59a7d5, v45
	v_fma_f32 v45, 0xbf59a7d5, v43, -v45
	s_delay_alu instid0(VALU_DEP_2) | instskip(NEXT) | instid1(VALU_DEP_2)
	v_dual_add_f32 v46, v46, v50 :: v_dual_add_f32 v51, v51, v56
	v_dual_add_f32 v45, v45, v49 :: v_dual_mul_f32 v50, 0xbf7ee86f, v42
	s_delay_alu instid0(VALU_DEP_1) | instskip(SKIP_1) | instid1(VALU_DEP_2)
	v_fmamk_f32 v49, v43, 0x3dbcf732, v50
	v_fma_f32 v50, 0x3dbcf732, v43, -v50
	v_add_f32_e32 v49, v49, v55
	v_mul_f32_e32 v55, 0xbeb8f4ab, v42
	v_mul_f32_e32 v52, 0x3f65296c, v42
	s_delay_alu instid0(VALU_DEP_1) | instskip(SKIP_1) | instid1(VALU_DEP_2)
	v_fmamk_f32 v56, v43, 0x3ee437d1, v52
	v_fma_f32 v52, 0x3ee437d1, v43, -v52
	v_add_f32_e32 v56, v56, v59
	v_mul_f32_e32 v64, 0x3f4c4adb, v42
	v_add_f32_e32 v60, v60, v68
	s_delay_alu instid0(VALU_DEP_4) | instskip(SKIP_1) | instid1(VALU_DEP_4)
	v_add_f32_e32 v52, v52, v53
	v_dual_add_f32 v68, v39, v41 :: v_dual_mul_f32 v41, 0x3eb8f4ab, v38
	v_fmamk_f32 v53, v43, 0xbf1a4643, v64
	v_fma_f32 v59, 0xbf1a4643, v43, -v64
	v_add_f32_e32 v50, v50, v54
	s_delay_alu instid0(VALU_DEP_3) | instskip(SKIP_3) | instid1(VALU_DEP_3)
	v_dual_mul_f32 v39, 0xbe3c28d5, v38 :: v_dual_add_f32 v20, v53, v20
	v_fmamk_f32 v53, v43, 0x3f6eb680, v55
	v_fma_f32 v55, 0x3f6eb680, v43, -v55
	v_mul_f32_e32 v64, 0x3f2c7751, v42
	v_dual_add_f32 v58, v59, v58 :: v_dual_add_f32 v53, v53, v61
	s_delay_alu instid0(VALU_DEP_3) | instskip(NEXT) | instid1(VALU_DEP_3)
	v_dual_add_f32 v55, v55, v57 :: v_dual_mul_f32 v54, 0xbe3c28d5, v42
	v_fma_f32 v40, 0x3f3d2fb0, v43, -v64
	s_delay_alu instid0(VALU_DEP_2) | instskip(NEXT) | instid1(VALU_DEP_2)
	v_fmamk_f32 v59, v43, 0xbf7ba420, v54
	v_dual_add_f32 v69, v40, v47 :: v_dual_mul_f32 v42, 0xbf763a35, v42
	v_fma_f32 v54, 0xbf7ba420, v43, -v54
	s_delay_alu instid0(VALU_DEP_3) | instskip(SKIP_1) | instid1(VALU_DEP_4)
	v_add_f32_e32 v57, v59, v60
	v_fmamk_f32 v59, v43, 0x3f3d2fb0, v64
	v_fma_f32 v40, 0xbe8c1d8e, v43, -v42
	s_delay_alu instid0(VALU_DEP_2)
	v_dual_add_f32 v66, v54, v63 :: v_dual_add_f32 v67, v59, v44
	v_fmamk_f32 v44, v43, 0xbe8c1d8e, v42
	v_fmamk_f32 v42, v68, 0xbf7ba420, v39
	v_fma_f32 v39, 0xbf7ba420, v68, -v39
	v_fmamk_f32 v43, v68, 0x3f6eb680, v41
	v_add_f32_e32 v71, v40, v46
	s_delay_alu instid0(VALU_DEP_3) | instskip(SKIP_1) | instid1(VALU_DEP_4)
	v_dual_add_f32 v70, v44, v48 :: v_dual_add_f32 v75, v39, v45
	v_fma_f32 v39, 0x3f6eb680, v68, -v41
	v_add_f32_e32 v77, v43, v56
	s_delay_alu instid0(VALU_DEP_2) | instskip(NEXT) | instid1(VALU_DEP_1)
	v_dual_add_f32 v78, v39, v52 :: v_dual_mul_f32 v39, 0xbf4c4adb, v38
	v_fmamk_f32 v43, v68, 0xbf1a4643, v39
	v_fma_f32 v39, 0xbf1a4643, v68, -v39
	s_delay_alu instid0(VALU_DEP_1) | instskip(SKIP_1) | instid1(VALU_DEP_1)
	v_add_f32_e32 v85, v39, v55
	v_mul_f32_e32 v39, 0xbf763a35, v38
	v_fmamk_f32 v89, v68, 0xbe8c1d8e, v39
	v_mul_f32_e32 v40, 0xbf06c442, v38
	v_dual_add_f32 v74, v42, v51 :: v_dual_mul_f32 v87, 0x3f7ee86f, v38
	s_delay_alu instid0(VALU_DEP_3) | instskip(NEXT) | instid1(VALU_DEP_3)
	v_dual_mul_f32 v42, 0x3f2c7751, v38 :: v_dual_add_f32 v67, v89, v67
	v_fmamk_f32 v41, v68, 0xbf59a7d5, v40
	s_delay_alu instid0(VALU_DEP_1) | instskip(SKIP_4) | instid1(VALU_DEP_4)
	v_add_f32_e32 v79, v41, v49
	v_mul_f32_e32 v41, 0x3f65296c, v38
	v_fma_f32 v40, 0xbf59a7d5, v68, -v40
	v_fma_f32 v90, 0xbe8c1d8e, v68, -v39
	v_fmamk_f32 v91, v68, 0x3dbcf732, v87
	v_fma_f32 v88, 0x3ee437d1, v68, -v41
	s_delay_alu instid0(VALU_DEP_4) | instskip(SKIP_4) | instid1(VALU_DEP_4)
	v_add_f32_e32 v81, v40, v50
	v_fmamk_f32 v40, v68, 0x3f3d2fb0, v42
	v_fma_f32 v42, 0x3f3d2fb0, v68, -v42
	v_add_f32_e32 v70, v91, v70
	v_dual_add_f32 v66, v88, v66 :: v_dual_add_f32 v69, v90, v69
	v_add_f32_e32 v82, v40, v20
	v_lshlrev_b32_e32 v40, 2, v76
	v_dual_fmamk_f32 v20, v68, 0x3ee437d1, v41 :: v_dual_add_f32 v83, v42, v58
	v_fma_f32 v68, 0x3dbcf732, v68, -v87
	s_delay_alu instid0(VALU_DEP_3) | instskip(NEXT) | instid1(VALU_DEP_3)
	v_add3_u32 v60, 0, v40, v62
	v_add_f32_e32 v86, v20, v57
	v_add_f32_e32 v84, v43, v53
	v_add3_u32 v61, 0, v62, v40
	s_delay_alu instid0(VALU_DEP_4)
	v_dual_add_f32 v68, v68, v71 :: v_dual_add_nc_u32 v63, 0x400, v60
	v_add_nc_u32_e32 v20, 0x200, v60
	ds_load_2addr_b32 v[38:39], v60 offset0:119 offset1:136
	ds_load_2addr_b32 v[46:47], v20 offset0:127 offset1:144
	;; [unrolled: 1-line block ×11, first 2 shown]
	ds_load_b32 v65, v61
	ds_load_b32 v64, v60 offset:1564
	global_wb scope:SCOPE_SE
	s_wait_dscnt 0x0
	s_barrier_signal -1
	s_barrier_wait -1
	global_inv scope:SCOPE_SE
	ds_store_2addr_b32 v73, v80, v74 offset1:1
	ds_store_2addr_b32 v73, v77, v79 offset0:2 offset1:3
	ds_store_2addr_b32 v73, v82, v84 offset0:4 offset1:5
	;; [unrolled: 1-line block ×7, first 2 shown]
	ds_store_b32 v73, v75 offset:64
	s_and_saveexec_b32 s1, s0
	s_cbranch_execz .LBB0_18
; %bb.17:
	v_sub_f32_e32 v30, v36, v30
	v_add_f32_e32 v66, v21, v37
	v_dual_add_f32 v36, v37, v31 :: v_dual_add_f32 v37, v35, v33
	s_delay_alu instid0(VALU_DEP_3) | instskip(NEXT) | instid1(VALU_DEP_3)
	v_dual_sub_f32 v32, v34, v32 :: v_dual_mul_f32 v69, 0xbf763a35, v30
	v_dual_add_f32 v34, v66, v35 :: v_dual_mul_f32 v71, 0xbf06c442, v30
	v_mul_f32_e32 v35, 0xbeb8f4ab, v30
	s_delay_alu instid0(VALU_DEP_3) | instskip(NEXT) | instid1(VALU_DEP_3)
	v_dual_mul_f32 v66, 0xbf2c7751, v30 :: v_dual_mul_f32 v73, 0xbf2c7751, v32
	v_dual_add_f32 v34, v34, v27 :: v_dual_mul_f32 v75, 0xbf4c4adb, v32
	v_mul_f32_e32 v67, 0xbf65296c, v30
	s_delay_alu instid0(VALU_DEP_4) | instskip(SKIP_1) | instid1(VALU_DEP_4)
	v_fmamk_f32 v78, v36, 0x3f6eb680, v35
	v_fma_f32 v35, 0x3f6eb680, v36, -v35
	v_dual_add_f32 v34, v34, v23 :: v_dual_fmamk_f32 v79, v36, 0x3f3d2fb0, v66
	v_mul_f32_e32 v68, 0xbf7ee86f, v30
	s_delay_alu instid0(VALU_DEP_3) | instskip(NEXT) | instid1(VALU_DEP_3)
	v_dual_mul_f32 v70, 0xbf4c4adb, v30 :: v_dual_add_f32 v35, v21, v35
	v_dual_add_f32 v34, v34, v17 :: v_dual_add_f32 v79, v21, v79
	s_delay_alu instid0(VALU_DEP_3) | instskip(SKIP_1) | instid1(VALU_DEP_3)
	v_fmamk_f32 v81, v36, 0x3dbcf732, v68
	v_dual_mul_f32 v30, 0xbe3c28d5, v30 :: v_dual_mul_f32 v77, 0xbe3c28d5, v32
	v_dual_add_f32 v34, v34, v13 :: v_dual_fmamk_f32 v83, v36, 0xbf1a4643, v70
	v_fmamk_f32 v82, v36, 0xbe8c1d8e, v69
	v_fma_f32 v69, 0xbe8c1d8e, v36, -v69
	s_delay_alu instid0(VALU_DEP_3) | instskip(SKIP_2) | instid1(VALU_DEP_4)
	v_dual_fmamk_f32 v85, v36, 0xbf7ba420, v30 :: v_dual_add_f32 v34, v34, v5
	v_fmamk_f32 v80, v36, 0x3ee437d1, v67
	v_fma_f32 v67, 0x3ee437d1, v36, -v67
	v_add_f32_e32 v69, v21, v69
	s_delay_alu instid0(VALU_DEP_4) | instskip(NEXT) | instid1(VALU_DEP_3)
	v_dual_fmamk_f32 v87, v37, 0xbf1a4643, v75 :: v_dual_add_f32 v34, v34, v1
	v_dual_mul_f32 v74, 0xbf7ee86f, v32 :: v_dual_add_f32 v67, v21, v67
	v_fma_f32 v75, 0xbf1a4643, v37, -v75
	s_delay_alu instid0(VALU_DEP_3) | instskip(SKIP_2) | instid1(VALU_DEP_4)
	v_dual_add_f32 v85, v21, v85 :: v_dual_add_f32 v34, v34, v3
	v_fmamk_f32 v88, v37, 0xbf7ba420, v77
	v_add_f32_e32 v81, v21, v81
	v_add_f32_e32 v67, v67, v75
	v_fma_f32 v68, 0x3dbcf732, v36, -v68
	v_add_f32_e32 v34, v7, v34
	v_add_f32_e32 v27, v27, v29
	v_fma_f32 v66, 0x3f3d2fb0, v36, -v66
	v_fma_f32 v70, 0xbf1a4643, v36, -v70
	s_delay_alu instid0(VALU_DEP_4)
	v_dual_add_f32 v75, v81, v88 :: v_dual_add_f32 v34, v15, v34
	v_add_f32_e32 v68, v21, v68
	v_fmamk_f32 v84, v36, 0xbf59a7d5, v71
	v_fma_f32 v71, 0xbf59a7d5, v36, -v71
	v_fma_f32 v30, 0xbf7ba420, v36, -v30
	v_dual_add_f32 v34, v19, v34 :: v_dual_add_f32 v83, v21, v83
	v_add_f32_e32 v66, v21, v66
	v_add_f32_e32 v70, v21, v70
	;; [unrolled: 1-line block ×3, first 2 shown]
	s_delay_alu instid0(VALU_DEP_4) | instskip(SKIP_2) | instid1(VALU_DEP_3)
	v_dual_add_f32 v34, v25, v34 :: v_dual_add_f32 v23, v23, v25
	v_dual_sub_f32 v22, v22, v24 :: v_dual_add_f32 v17, v17, v19
	v_sub_f32_e32 v16, v16, v18
	v_add_f32_e32 v34, v29, v34
	v_add_f32_e32 v13, v13, v15
	s_delay_alu instid0(VALU_DEP_4) | instskip(NEXT) | instid1(VALU_DEP_4)
	v_mul_f32_e32 v25, 0xbf7ee86f, v22
	v_dual_sub_f32 v12, v12, v14 :: v_dual_mul_f32 v19, 0xbf763a35, v16
	s_delay_alu instid0(VALU_DEP_4) | instskip(SKIP_2) | instid1(VALU_DEP_4)
	v_add_f32_e32 v33, v33, v34
	v_fmamk_f32 v86, v37, 0x3dbcf732, v74
	v_fma_f32 v74, 0x3dbcf732, v37, -v74
	v_mul_f32_e32 v15, 0xbf4c4adb, v12
	v_add_f32_e32 v5, v5, v7
	v_dual_add_f32 v31, v31, v33 :: v_dual_fmamk_f32 v36, v37, 0x3f3d2fb0, v73
	v_fma_f32 v73, 0x3f3d2fb0, v37, -v73
	v_dual_mul_f32 v33, 0x3f06c442, v32 :: v_dual_sub_f32 v4, v4, v6
	s_delay_alu instid0(VALU_DEP_2) | instskip(SKIP_2) | instid1(VALU_DEP_4)
	v_dual_add_f32 v1, v1, v3 :: v_dual_add_f32 v34, v35, v73
	v_add_f32_e32 v82, v21, v82
	v_fma_f32 v73, 0xbf7ba420, v37, -v77
	v_fmamk_f32 v77, v37, 0xbf59a7d5, v33
	v_add_f32_e32 v78, v21, v78
	v_add_f32_e32 v35, v79, v86
	v_fma_f32 v33, 0xbf59a7d5, v37, -v33
	v_mul_f32_e32 v7, 0xbf06c442, v4
	v_add_f32_e32 v77, v82, v77
	v_sub_f32_e32 v26, v26, v28
	v_add_f32_e32 v84, v21, v84
	v_add_f32_e32 v33, v69, v33
	s_delay_alu instid0(VALU_DEP_3)
	v_dual_mul_f32 v29, 0xbf65296c, v26 :: v_dual_add_f32 v80, v21, v80
	v_dual_add_f32 v21, v21, v30 :: v_dual_add_f32 v30, v78, v36
	v_mul_f32_e32 v78, 0x3f65296c, v32
	v_add_f32_e32 v36, v66, v74
	v_mul_f32_e32 v74, 0x3f763a35, v32
	v_add_f32_e32 v68, v68, v73
	s_delay_alu instid0(VALU_DEP_4) | instskip(NEXT) | instid1(VALU_DEP_3)
	v_fma_f32 v28, 0x3ee437d1, v37, -v78
	v_fmamk_f32 v73, v37, 0xbe8c1d8e, v74
	v_fma_f32 v74, 0xbe8c1d8e, v37, -v74
	s_delay_alu instid0(VALU_DEP_3) | instskip(NEXT) | instid1(VALU_DEP_3)
	v_dual_add_f32 v28, v71, v28 :: v_dual_mul_f32 v71, 0xbf4c4adb, v26
	v_add_f32_e32 v69, v83, v73
	s_delay_alu instid0(VALU_DEP_3) | instskip(NEXT) | instid1(VALU_DEP_3)
	v_dual_fmamk_f32 v73, v37, 0x3ee437d1, v78 :: v_dual_add_f32 v70, v70, v74
	v_fmamk_f32 v78, v27, 0xbf1a4643, v71
	s_delay_alu instid0(VALU_DEP_2) | instskip(NEXT) | instid1(VALU_DEP_1)
	v_dual_mul_f32 v32, 0x3eb8f4ab, v32 :: v_dual_add_f32 v73, v84, v73
	v_dual_add_f32 v35, v35, v78 :: v_dual_fmamk_f32 v74, v37, 0x3f6eb680, v32
	v_add_f32_e32 v66, v80, v87
	v_fma_f32 v32, 0x3f6eb680, v37, -v32
	s_delay_alu instid0(VALU_DEP_3) | instskip(SKIP_1) | instid1(VALU_DEP_3)
	v_dual_add_f32 v37, v85, v74 :: v_dual_fmamk_f32 v74, v27, 0x3ee437d1, v29
	v_fma_f32 v29, 0x3ee437d1, v27, -v29
	v_add_f32_e32 v21, v21, v32
	s_delay_alu instid0(VALU_DEP_2) | instskip(SKIP_1) | instid1(VALU_DEP_1)
	v_dual_add_f32 v29, v34, v29 :: v_dual_mul_f32 v32, 0x3e3c28d5, v26
	v_fma_f32 v34, 0xbf1a4643, v27, -v71
	v_dual_fmamk_f32 v71, v27, 0xbf7ba420, v32 :: v_dual_add_f32 v34, v36, v34
	v_fma_f32 v32, 0xbf7ba420, v27, -v32
	s_delay_alu instid0(VALU_DEP_2) | instskip(SKIP_1) | instid1(VALU_DEP_1)
	v_add_f32_e32 v36, v66, v71
	v_mul_f32_e32 v66, 0x3f2c7751, v26
	v_fmamk_f32 v78, v27, 0x3f3d2fb0, v66
	v_fma_f32 v66, 0x3f3d2fb0, v27, -v66
	s_delay_alu instid0(VALU_DEP_1) | instskip(SKIP_2) | instid1(VALU_DEP_1)
	v_add_f32_e32 v33, v33, v66
	v_add_f32_e32 v30, v30, v74
	v_mul_f32_e32 v74, 0x3f763a35, v26
	v_fmamk_f32 v71, v27, 0xbe8c1d8e, v74
	s_delay_alu instid0(VALU_DEP_1) | instskip(SKIP_2) | instid1(VALU_DEP_1)
	v_add_f32_e32 v71, v75, v71
	v_add_f32_e32 v75, v77, v78
	v_mul_f32_e32 v66, 0xbf7ee86f, v26
	v_fmamk_f32 v24, v27, 0x3dbcf732, v66
	v_fma_f32 v66, 0x3dbcf732, v27, -v66
	v_add_f32_e32 v32, v67, v32
	v_fma_f32 v67, 0xbe8c1d8e, v27, -v74
	v_mul_f32_e32 v74, 0xbeb8f4ab, v26
	s_delay_alu instid0(VALU_DEP_2) | instskip(NEXT) | instid1(VALU_DEP_2)
	v_dual_mul_f32 v26, 0xbf06c442, v26 :: v_dual_add_f32 v67, v68, v67
	v_fmamk_f32 v68, v27, 0x3f6eb680, v74
	v_fma_f32 v74, 0x3f6eb680, v27, -v74
	s_delay_alu instid0(VALU_DEP_1) | instskip(NEXT) | instid1(VALU_DEP_4)
	v_dual_add_f32 v68, v69, v68 :: v_dual_add_f32 v69, v70, v74
	v_fmamk_f32 v70, v27, 0xbf59a7d5, v26
	v_fma_f32 v26, 0xbf59a7d5, v27, -v26
	v_add_f32_e32 v27, v28, v66
	s_delay_alu instid0(VALU_DEP_3) | instskip(SKIP_1) | instid1(VALU_DEP_2)
	v_dual_add_f32 v28, v37, v70 :: v_dual_fmamk_f32 v37, v23, 0x3dbcf732, v25
	v_fma_f32 v25, 0x3dbcf732, v23, -v25
	v_dual_add_f32 v21, v21, v26 :: v_dual_add_f32 v30, v30, v37
	s_delay_alu instid0(VALU_DEP_2) | instskip(NEXT) | instid1(VALU_DEP_1)
	v_dual_add_f32 v25, v29, v25 :: v_dual_mul_f32 v66, 0xbe3c28d5, v22
	v_fmamk_f32 v37, v23, 0xbf7ba420, v66
	v_fma_f32 v66, 0xbf7ba420, v23, -v66
	s_delay_alu instid0(VALU_DEP_1) | instskip(SKIP_1) | instid1(VALU_DEP_1)
	v_dual_add_f32 v35, v35, v37 :: v_dual_add_f32 v34, v34, v66
	v_mul_f32_e32 v26, 0x3f763a35, v22
	v_fmamk_f32 v29, v23, 0xbe8c1d8e, v26
	v_fma_f32 v26, 0xbe8c1d8e, v23, -v26
	s_delay_alu instid0(VALU_DEP_2) | instskip(NEXT) | instid1(VALU_DEP_2)
	v_dual_add_f32 v29, v36, v29 :: v_dual_mul_f32 v70, 0x3eb8f4ab, v22
	v_add_f32_e32 v26, v32, v26
	v_mul_f32_e32 v32, 0xbf06c442, v22
	s_delay_alu instid0(VALU_DEP_3) | instskip(SKIP_1) | instid1(VALU_DEP_2)
	v_fma_f32 v66, 0x3f6eb680, v23, -v70
	v_fmamk_f32 v36, v23, 0x3f6eb680, v70
	v_add_f32_e32 v66, v67, v66
	s_delay_alu instid0(VALU_DEP_4) | instskip(NEXT) | instid1(VALU_DEP_3)
	v_dual_fmamk_f32 v67, v23, 0xbf59a7d5, v32 :: v_dual_add_f32 v24, v73, v24
	v_dual_mul_f32 v37, 0xbf65296c, v22 :: v_dual_add_f32 v36, v71, v36
	v_mul_f32_e32 v71, 0x3f4c4adb, v22
	v_mul_f32_e32 v22, 0x3f2c7751, v22
	v_fma_f32 v32, 0xbf59a7d5, v23, -v32
	s_delay_alu instid0(VALU_DEP_4) | instskip(SKIP_2) | instid1(VALU_DEP_2)
	v_fmamk_f32 v70, v23, 0x3ee437d1, v37
	v_fma_f32 v37, 0x3ee437d1, v23, -v37
	v_fma_f32 v18, 0xbf1a4643, v23, -v71
	v_add_f32_e32 v33, v33, v37
	v_add_f32_e32 v37, v68, v67
	v_fmamk_f32 v67, v23, 0xbf1a4643, v71
	s_delay_alu instid0(VALU_DEP_4) | instskip(NEXT) | instid1(VALU_DEP_2)
	v_dual_add_f32 v18, v27, v18 :: v_dual_mul_f32 v27, 0x3f06c442, v16
	v_dual_add_f32 v24, v24, v67 :: v_dual_fmamk_f32 v67, v23, 0x3f3d2fb0, v22
	v_fma_f32 v22, 0x3f3d2fb0, v23, -v22
	s_delay_alu instid0(VALU_DEP_2) | instskip(SKIP_1) | instid1(VALU_DEP_3)
	v_dual_add_f32 v23, v28, v67 :: v_dual_fmamk_f32 v28, v17, 0xbe8c1d8e, v19
	v_fma_f32 v19, 0xbe8c1d8e, v17, -v19
	v_add_f32_e32 v21, v21, v22
	s_delay_alu instid0(VALU_DEP_3) | instskip(NEXT) | instid1(VALU_DEP_3)
	v_dual_fmamk_f32 v67, v17, 0xbf59a7d5, v27 :: v_dual_add_f32 v28, v30, v28
	v_add_f32_e32 v19, v25, v19
	v_fma_f32 v25, 0xbf59a7d5, v17, -v27
	s_delay_alu instid0(VALU_DEP_3) | instskip(NEXT) | instid1(VALU_DEP_2)
	v_add_f32_e32 v30, v35, v67
	v_dual_add_f32 v32, v69, v32 :: v_dual_add_f32 v25, v34, v25
	v_mul_f32_e32 v22, 0x3f2c7751, v16
	s_delay_alu instid0(VALU_DEP_1) | instskip(SKIP_1) | instid1(VALU_DEP_2)
	v_fmamk_f32 v27, v17, 0x3f3d2fb0, v22
	v_fma_f32 v22, 0x3f3d2fb0, v17, -v22
	v_add_f32_e32 v27, v29, v27
	v_mul_f32_e32 v29, 0xbe3c28d5, v16
	s_delay_alu instid0(VALU_DEP_1) | instskip(NEXT) | instid1(VALU_DEP_4)
	v_fmamk_f32 v67, v17, 0xbf7ba420, v29
	v_dual_mul_f32 v35, 0xbf65296c, v16 :: v_dual_add_f32 v22, v26, v22
	v_fma_f32 v29, 0xbf7ba420, v17, -v29
	s_delay_alu instid0(VALU_DEP_2) | instskip(SKIP_2) | instid1(VALU_DEP_4)
	v_fmamk_f32 v34, v17, 0x3ee437d1, v35
	v_fma_f32 v26, 0x3ee437d1, v17, -v35
	v_mul_f32_e32 v35, 0x3f7ee86f, v16
	v_add_f32_e32 v29, v33, v29
	s_delay_alu instid0(VALU_DEP_4) | instskip(SKIP_1) | instid1(VALU_DEP_4)
	v_dual_mul_f32 v33, 0xbeb8f4ab, v16 :: v_dual_add_f32 v34, v36, v34
	v_mul_f32_e32 v16, 0xbf4c4adb, v16
	v_fmamk_f32 v36, v17, 0x3dbcf732, v35
	v_fma_f32 v35, 0x3dbcf732, v17, -v35
	s_delay_alu instid0(VALU_DEP_4) | instskip(SKIP_2) | instid1(VALU_DEP_4)
	v_fmamk_f32 v14, v17, 0x3f6eb680, v33
	v_add_f32_e32 v26, v66, v26
	v_fma_f32 v33, 0x3f6eb680, v17, -v33
	v_dual_add_f32 v32, v32, v35 :: v_dual_fmamk_f32 v35, v17, 0xbf1a4643, v16
	s_delay_alu instid0(VALU_DEP_4) | instskip(SKIP_2) | instid1(VALU_DEP_4)
	v_add_f32_e32 v14, v24, v14
	v_fma_f32 v16, 0xbf1a4643, v17, -v16
	v_mul_f32_e32 v24, 0x3f763a35, v12
	v_dual_add_f32 v18, v18, v33 :: v_dual_add_f32 v17, v23, v35
	v_fmamk_f32 v23, v13, 0xbf1a4643, v15
	v_fma_f32 v15, 0xbf1a4643, v13, -v15
	v_mul_f32_e32 v33, 0xbf06c442, v12
	s_delay_alu instid0(VALU_DEP_3) | instskip(SKIP_1) | instid1(VALU_DEP_4)
	v_dual_add_f32 v23, v28, v23 :: v_dual_fmamk_f32 v28, v13, 0xbe8c1d8e, v24
	v_add_f32_e32 v70, v75, v70
	v_add_f32_e32 v15, v19, v15
	v_fma_f32 v19, 0xbe8c1d8e, v13, -v24
	s_delay_alu instid0(VALU_DEP_4) | instskip(SKIP_2) | instid1(VALU_DEP_4)
	v_add_f32_e32 v28, v30, v28
	v_add_f32_e32 v16, v21, v16
	v_dual_mul_f32 v21, 0xbeb8f4ab, v12 :: v_dual_add_f32 v66, v70, v67
	v_add_f32_e32 v19, v25, v19
	v_fmamk_f32 v25, v13, 0xbf59a7d5, v33
	s_delay_alu instid0(VALU_DEP_3) | instskip(SKIP_1) | instid1(VALU_DEP_2)
	v_fmamk_f32 v24, v13, 0x3f6eb680, v21
	v_fma_f32 v21, 0x3f6eb680, v13, -v21
	v_dual_add_f32 v25, v34, v25 :: v_dual_add_f32 v24, v27, v24
	v_mul_f32_e32 v27, 0x3f7ee86f, v12
	s_delay_alu instid0(VALU_DEP_3) | instskip(SKIP_1) | instid1(VALU_DEP_3)
	v_add_f32_e32 v21, v22, v21
	v_fma_f32 v22, 0xbf59a7d5, v13, -v33
	v_fmamk_f32 v33, v13, 0x3dbcf732, v27
	v_fma_f32 v27, 0x3dbcf732, v13, -v27
	v_mul_f32_e32 v30, 0xbf2c7751, v12
	s_delay_alu instid0(VALU_DEP_4) | instskip(NEXT) | instid1(VALU_DEP_4)
	v_add_f32_e32 v22, v26, v22
	v_dual_mul_f32 v6, 0x3f65296c, v12 :: v_dual_add_f32 v33, v66, v33
	s_delay_alu instid0(VALU_DEP_4) | instskip(SKIP_1) | instid1(VALU_DEP_1)
	v_add_f32_e32 v27, v29, v27
	v_mul_f32_e32 v29, 0xbe3c28d5, v12
	v_fmamk_f32 v12, v13, 0xbf7ba420, v29
	v_fma_f32 v29, 0xbf7ba420, v13, -v29
	v_add_f32_e32 v36, v37, v36
	s_delay_alu instid0(VALU_DEP_3) | instskip(SKIP_2) | instid1(VALU_DEP_2)
	v_add_f32_e32 v12, v14, v12
	v_fmamk_f32 v14, v5, 0xbf59a7d5, v7
	v_fma_f32 v7, 0xbf59a7d5, v5, -v7
	v_add_f32_e32 v14, v23, v14
	s_delay_alu instid0(VALU_DEP_2) | instskip(SKIP_1) | instid1(VALU_DEP_1)
	v_dual_add_f32 v7, v15, v7 :: v_dual_fmamk_f32 v26, v13, 0x3f3d2fb0, v30
	v_fma_f32 v30, 0x3f3d2fb0, v13, -v30
	v_dual_mul_f32 v15, 0x3f4c4adb, v4 :: v_dual_add_f32 v30, v32, v30
	v_fmamk_f32 v32, v13, 0x3ee437d1, v6
	v_fma_f32 v6, 0x3ee437d1, v13, -v6
	v_dual_add_f32 v13, v18, v29 :: v_dual_sub_f32 v0, v0, v2
	s_delay_alu instid0(VALU_DEP_3) | instskip(SKIP_1) | instid1(VALU_DEP_1)
	v_add_f32_e32 v17, v17, v32
	v_mul_f32_e32 v18, 0x3f65296c, v4
	v_fmamk_f32 v23, v5, 0x3ee437d1, v18
	v_fma_f32 v18, 0x3ee437d1, v5, -v18
	s_delay_alu instid0(VALU_DEP_2) | instskip(SKIP_1) | instid1(VALU_DEP_3)
	v_add_f32_e32 v23, v28, v23
	v_add_f32_e32 v6, v16, v6
	v_dual_add_f32 v18, v19, v18 :: v_dual_fmamk_f32 v19, v5, 0xbf1a4643, v15
	v_mul_f32_e32 v28, 0xbeb8f4ab, v4
	v_fma_f32 v15, 0xbf1a4643, v5, -v15
	s_delay_alu instid0(VALU_DEP_3) | instskip(NEXT) | instid1(VALU_DEP_3)
	v_add_f32_e32 v19, v25, v19
	v_fmamk_f32 v25, v5, 0x3f6eb680, v28
	s_delay_alu instid0(VALU_DEP_3) | instskip(SKIP_1) | instid1(VALU_DEP_3)
	v_add_f32_e32 v15, v22, v15
	v_fma_f32 v22, 0x3f6eb680, v5, -v28
	v_dual_mul_f32 v28, 0x3f2c7751, v4 :: v_dual_add_f32 v25, v33, v25
	s_delay_alu instid0(VALU_DEP_2) | instskip(SKIP_1) | instid1(VALU_DEP_3)
	v_add_f32_e32 v22, v27, v22
	v_mul_f32_e32 v16, 0xbf7ee86f, v4
	v_fmamk_f32 v27, v5, 0x3f3d2fb0, v28
	s_delay_alu instid0(VALU_DEP_2) | instskip(SKIP_1) | instid1(VALU_DEP_3)
	v_fmamk_f32 v29, v5, 0x3dbcf732, v16
	v_fma_f32 v16, 0x3dbcf732, v5, -v16
	v_add_f32_e32 v2, v12, v27
	v_fma_f32 v12, 0x3f3d2fb0, v5, -v28
	s_delay_alu instid0(VALU_DEP_4) | instskip(NEXT) | instid1(VALU_DEP_4)
	v_add_f32_e32 v24, v24, v29
	v_add_f32_e32 v16, v21, v16
	v_mul_f32_e32 v21, 0xbe3c28d5, v4
	v_mul_f32_e32 v4, 0xbf763a35, v4
	s_delay_alu instid0(VALU_DEP_2) | instskip(SKIP_1) | instid1(VALU_DEP_3)
	v_fmamk_f32 v29, v5, 0xbf7ba420, v21
	v_fma_f32 v21, 0xbf7ba420, v5, -v21
	v_fmamk_f32 v27, v5, 0xbe8c1d8e, v4
	v_fma_f32 v4, 0xbe8c1d8e, v5, -v4
	v_add_f32_e32 v5, v13, v12
	v_mul_f32_e32 v3, 0xbe3c28d5, v0
	s_delay_alu instid0(VALU_DEP_4) | instskip(NEXT) | instid1(VALU_DEP_4)
	v_dual_mul_f32 v12, 0x3eb8f4ab, v0 :: v_dual_add_f32 v13, v17, v27
	v_add_f32_e32 v4, v6, v4
	v_mul_f32_e32 v27, 0xbf06c442, v0
	s_delay_alu instid0(VALU_DEP_4) | instskip(SKIP_4) | instid1(VALU_DEP_4)
	v_fmamk_f32 v17, v1, 0xbf7ba420, v3
	v_fma_f32 v3, 0xbf7ba420, v1, -v3
	v_fmamk_f32 v6, v1, 0x3f6eb680, v12
	v_fma_f32 v12, 0x3f6eb680, v1, -v12
	v_add_f32_e32 v21, v30, v21
	v_dual_add_f32 v14, v14, v17 :: v_dual_add_f32 v3, v7, v3
	v_dual_fmamk_f32 v7, v1, 0xbf59a7d5, v27 :: v_dual_add_f32 v26, v36, v26
	v_dual_add_f32 v6, v23, v6 :: v_dual_mul_f32 v17, 0x3f2c7751, v0
	v_add_f32_e32 v12, v18, v12
	v_fma_f32 v18, 0xbf59a7d5, v1, -v27
	s_delay_alu instid0(VALU_DEP_4) | instskip(NEXT) | instid1(VALU_DEP_4)
	v_dual_add_f32 v26, v26, v29 :: v_dual_mul_f32 v23, 0xbf4c4adb, v0
	v_dual_add_f32 v7, v24, v7 :: v_dual_fmamk_f32 v24, v1, 0x3f3d2fb0, v17
	s_delay_alu instid0(VALU_DEP_3) | instskip(SKIP_1) | instid1(VALU_DEP_4)
	v_add_f32_e32 v16, v16, v18
	v_fma_f32 v17, 0x3f3d2fb0, v1, -v17
	v_fmamk_f32 v18, v1, 0xbf1a4643, v23
	v_mul_f32_e32 v27, 0x3f65296c, v0
	v_add_f32_e32 v19, v19, v24
	s_delay_alu instid0(VALU_DEP_3) | instskip(SKIP_1) | instid1(VALU_DEP_4)
	v_dual_add_f32 v15, v15, v17 :: v_dual_add_f32 v18, v25, v18
	v_fma_f32 v17, 0xbf1a4643, v1, -v23
	v_fmamk_f32 v23, v1, 0x3ee437d1, v27
	v_fma_f32 v24, 0x3ee437d1, v1, -v27
	v_mul_f32_e32 v25, 0xbf763a35, v0
	s_delay_alu instid0(VALU_DEP_4) | instskip(NEXT) | instid1(VALU_DEP_2)
	v_dual_mul_f32 v0, 0x3f7ee86f, v0 :: v_dual_add_f32 v17, v22, v17
	v_dual_add_f32 v22, v26, v23 :: v_dual_fmamk_f32 v23, v1, 0xbe8c1d8e, v25
	s_delay_alu instid0(VALU_DEP_4) | instskip(SKIP_1) | instid1(VALU_DEP_4)
	v_add_f32_e32 v21, v21, v24
	v_fma_f32 v24, 0xbe8c1d8e, v1, -v25
	v_fmamk_f32 v25, v1, 0x3dbcf732, v0
	v_fma_f32 v0, 0x3dbcf732, v1, -v0
	v_add3_u32 v1, 0, v72, v62
	s_delay_alu instid0(VALU_DEP_4) | instskip(NEXT) | instid1(VALU_DEP_3)
	v_add_f32_e32 v5, v5, v24
	v_dual_add_f32 v13, v13, v25 :: v_dual_add_f32 v0, v4, v0
	v_add_f32_e32 v2, v2, v23
	ds_store_2addr_b32 v1, v31, v14 offset1:1
	ds_store_2addr_b32 v1, v6, v7 offset0:2 offset1:3
	ds_store_2addr_b32 v1, v19, v18 offset0:4 offset1:5
	ds_store_2addr_b32 v1, v22, v2 offset0:6 offset1:7
	ds_store_2addr_b32 v1, v13, v0 offset0:8 offset1:9
	ds_store_2addr_b32 v1, v5, v21 offset0:10 offset1:11
	ds_store_2addr_b32 v1, v17, v15 offset0:12 offset1:13
	ds_store_2addr_b32 v1, v16, v12 offset0:14 offset1:15
	ds_store_b32 v1, v3 offset:64
.LBB0_18:
	s_wait_alu 0xfffe
	s_or_b32 exec_lo, exec_lo, s1
	v_dual_mov_b32 v13, 0 :: v_dual_lshlrev_b32 v12, 1, v76
	global_wb scope:SCOPE_SE
	s_wait_dscnt 0x0
	s_barrier_signal -1
	s_barrier_wait -1
	global_inv scope:SCOPE_SE
	v_lshlrev_b64_e32 v[0:1], 3, v[12:13]
	v_add_nc_u16 v5, v76, 0x44
	v_add_nc_u16 v4, v76, 51
	;; [unrolled: 1-line block ×5, first 2 shown]
	v_add_co_u32 v0, s0, s8, v0
	s_wait_alu 0xf1ff
	v_add_co_ci_u32_e64 v1, s0, s9, v1, s0
	v_and_b32_e32 v19, 0xff, v14
	v_and_b32_e32 v21, 0xff, v18
	global_load_b128 v[0:3], v[0:1], off
	v_and_b32_e32 v16, 0xff, v5
	v_and_b32_e32 v15, 0xff, v4
	v_mul_lo_u16 v19, 0xf1, v19
	v_mul_lo_u16 v21, 0xf1, v21
	s_delay_alu instid0(VALU_DEP_4) | instskip(NEXT) | instid1(VALU_DEP_4)
	v_mul_lo_u16 v16, 0xf1, v16
	v_mul_lo_u16 v15, 0xf1, v15
	s_delay_alu instid0(VALU_DEP_4) | instskip(NEXT) | instid1(VALU_DEP_4)
	v_lshrrev_b16 v19, 12, v19
	v_lshrrev_b16 v21, 12, v21
	s_delay_alu instid0(VALU_DEP_4) | instskip(NEXT) | instid1(VALU_DEP_4)
	v_lshrrev_b16 v16, 12, v16
	v_lshrrev_b16 v15, 12, v15
	s_delay_alu instid0(VALU_DEP_2) | instskip(NEXT) | instid1(VALU_DEP_2)
	v_mul_lo_u16 v16, v16, 17
	v_mul_lo_u16 v15, v15, 17
	s_delay_alu instid0(VALU_DEP_2) | instskip(NEXT) | instid1(VALU_DEP_2)
	v_sub_nc_u16 v5, v5, v16
	v_sub_nc_u16 v4, v4, v15
	v_mul_lo_u16 v15, v19, 17
	v_mul_lo_u16 v19, v21, 17
	s_delay_alu instid0(VALU_DEP_4) | instskip(NEXT) | instid1(VALU_DEP_4)
	v_and_b32_e32 v88, 0xff, v5
	v_and_b32_e32 v87, 0xff, v4
	s_delay_alu instid0(VALU_DEP_4) | instskip(NEXT) | instid1(VALU_DEP_4)
	v_sub_nc_u16 v21, v14, v15
	v_sub_nc_u16 v18, v18, v19
	s_delay_alu instid0(VALU_DEP_4) | instskip(NEXT) | instid1(VALU_DEP_3)
	v_lshlrev_b32_e32 v22, 4, v88
	v_and_b32_e32 v90, 0xff, v21
	s_delay_alu instid0(VALU_DEP_3) | instskip(SKIP_4) | instid1(VALU_DEP_3)
	v_and_b32_e32 v91, 0xff, v18
	global_load_b128 v[21:24], v22, s[8:9]
	v_add_nc_u32_e32 v12, 34, v76
	v_and_b32_e32 v17, 0xff, v6
	v_lshlrev_b32_e32 v18, 4, v90
	v_and_b32_e32 v7, 0xff, v12
	s_delay_alu instid0(VALU_DEP_3) | instskip(NEXT) | instid1(VALU_DEP_2)
	v_mul_lo_u16 v17, 0xf1, v17
	v_mul_lo_u16 v7, 0xf1, v7
	s_delay_alu instid0(VALU_DEP_2) | instskip(NEXT) | instid1(VALU_DEP_2)
	v_lshrrev_b16 v17, 12, v17
	v_lshrrev_b16 v7, 12, v7
	s_delay_alu instid0(VALU_DEP_1) | instskip(NEXT) | instid1(VALU_DEP_1)
	v_mul_lo_u16 v7, v7, 17
	v_sub_nc_u16 v7, v12, v7
	s_delay_alu instid0(VALU_DEP_1) | instskip(SKIP_2) | instid1(VALU_DEP_3)
	v_and_b32_e32 v37, 0xff, v7
	v_mul_lo_u16 v7, v17, 17
	v_lshlrev_b32_e32 v17, 4, v87
	v_lshlrev_b32_e32 v4, 4, v37
	s_delay_alu instid0(VALU_DEP_3)
	v_sub_nc_u16 v16, v6, v7
	v_lshlrev_b32_e32 v37, 2, v37
	global_load_b128 v[4:7], v4, s[8:9]
	v_and_b32_e32 v89, 0xff, v16
	global_load_b128 v[14:17], v17, s[8:9]
	v_add3_u32 v94, 0, v37, v62
	v_lshlrev_b32_e32 v19, 4, v89
	s_clause 0x1
	global_load_b128 v[25:28], v19, s[8:9]
	global_load_b128 v[29:32], v18, s[8:9]
	s_wait_loadcnt 0x5
	v_mul_f32_e32 v99, v47, v3
	v_dual_mul_f32 v97, v39, v1 :: v_dual_lshlrev_b32 v18, 4, v91
	global_load_b128 v[33:36], v18, s[8:9]
	ds_load_2addr_b32 v[66:67], v60 offset0:119 offset1:136
	ds_load_2addr_b32 v[18:19], v20 offset0:127 offset1:144
	ds_load_2addr_b32 v[68:69], v60 offset0:17 offset1:34
	ds_load_2addr_b32 v[70:71], v60 offset0:153 offset1:170
	ds_load_2addr_b32 v[72:73], v63 offset0:33 offset1:50
	ds_load_2addr_b32 v[74:75], v60 offset0:51 offset1:68
	ds_load_2addr_b32 v[77:78], v60 offset0:187 offset1:204
	ds_load_2addr_b32 v[79:80], v63 offset0:67 offset1:84
	ds_load_2addr_b32 v[81:82], v60 offset0:85 offset1:102
	ds_load_2addr_b32 v[83:84], v60 offset0:221 offset1:238
	ds_load_2addr_b32 v[85:86], v63 offset0:101 offset1:118
	ds_load_b32 v92, v61
	ds_load_b32 v93, v60 offset:1564
	global_wb scope:SCOPE_SE
	s_wait_loadcnt_dscnt 0x0
	s_barrier_signal -1
	s_barrier_wait -1
	global_inv scope:SCOPE_SE
	v_mul_f32_e32 v37, v67, v1
	v_fmac_f32_e32 v99, v19, v2
	v_mul_f32_e32 v98, v19, v3
	v_mul_f32_e32 v100, v70, v1
	;; [unrolled: 1-line block ×5, first 2 shown]
	v_fma_f32 v37, v39, v0, -v37
	v_dual_fmac_f32 v97, v67, v0 :: v_dual_lshlrev_b32 v90, 2, v90
	v_fmac_f32_e32 v1, v70, v0
	v_fma_f32 v19, v58, v0, -v100
	v_fma_f32 v0, v56, v2, -v101
	v_dual_fmac_f32 v3, v72, v2 :: v_dual_lshlrev_b32 v88, 2, v88
	v_fma_f32 v39, v47, v2, -v98
	v_add_f32_e32 v98, v68, v1
	s_delay_alu instid0(VALU_DEP_4)
	v_add_f32_e32 v72, v19, v0
	v_add_f32_e32 v2, v65, v37
	v_sub_f32_e32 v56, v97, v99
	v_dual_add_f32 v58, v92, v97 :: v_dual_add_f32 v67, v97, v99
	v_add_f32_e32 v70, v40, v19
	v_sub_f32_e32 v97, v1, v3
	v_add_f32_e32 v1, v1, v3
	v_fma_f32 v40, -0.5, v72, v40
	v_add_f32_e32 v3, v98, v3
	v_dual_sub_f32 v19, v19, v0 :: v_dual_add_f32 v2, v2, v39
	v_dual_add_f32 v0, v70, v0 :: v_dual_lshlrev_b32 v89, 2, v89
	v_mul_f32_e32 v72, v78, v22
	v_fmac_f32_e32 v92, -0.5, v67
	v_add3_u32 v90, 0, v90, v62
	v_mul_f32_e32 v22, v55, v22
	s_delay_alu instid0(VALU_DEP_1)
	v_dual_fmac_f32 v22, v78, v21 :: v_dual_add_nc_u32 v95, 0x400, v90
	v_mul_f32_e32 v67, v73, v7
	v_dual_mul_f32 v7, v57, v7 :: v_dual_mul_f32 v70, v79, v17
	v_dual_mul_f32 v98, v83, v26 :: v_dual_add_f32 v47, v37, v39
	v_sub_f32_e32 v37, v37, v39
	v_lshlrev_b32_e32 v91, 2, v91
	v_dual_mul_f32 v26, v50, v26 :: v_dual_lshlrev_b32 v87, 2, v87
	s_delay_alu instid0(VALU_DEP_4)
	v_fmac_f32_e32 v65, -0.5, v47
	v_fma_f32 v1, -0.5, v1, v68
	v_mul_f32_e32 v68, v77, v15
	v_add3_u32 v89, 0, v89, v62
	v_add_f32_e32 v39, v58, v99
	v_fmamk_f32 v47, v56, 0x3f5db3d7, v65
	v_dual_fmac_f32 v65, 0xbf5db3d7, v56 :: v_dual_fmamk_f32 v56, v37, 0xbf5db3d7, v92
	v_fmac_f32_e32 v92, 0x3f5db3d7, v37
	v_add3_u32 v91, 0, v91, v62
	v_fmamk_f32 v37, v97, 0x3f5db3d7, v40
	v_fmac_f32_e32 v40, 0xbf5db3d7, v97
	v_add3_u32 v87, 0, v87, v62
	v_add3_u32 v62, 0, v88, v62
	v_add_nc_u32_e32 v88, 0x200, v89
	v_add_nc_u32_e32 v96, 0x400, v91
	v_mul_f32_e32 v100, v84, v30
	v_fmamk_f32 v58, v19, 0xbf5db3d7, v1
	v_fmac_f32_e32 v1, 0x3f5db3d7, v19
	v_mul_f32_e32 v19, v71, v5
	v_mul_f32_e32 v5, v59, v5
	v_dual_mul_f32 v15, v54, v15 :: v_dual_fmac_f32 v26, v83, v25
	ds_store_2addr_b32 v60, v65, v0 offset0:34 offset1:51
	v_mul_f32_e32 v0, v49, v32
	v_mul_f32_e32 v97, v80, v24
	;; [unrolled: 1-line block ×6, first 2 shown]
	ds_store_2addr_b32 v60, v2, v47 offset1:17
	v_mul_f32_e32 v2, v51, v30
	v_mul_f32_e32 v30, v86, v32
	v_fmac_f32_e32 v28, v85, v27
	ds_store_2addr_b32 v60, v37, v40 offset0:68 offset1:85
	v_fma_f32 v19, v59, v4, -v19
	v_dual_fmac_f32 v15, v77, v14 :: v_dual_fmac_f32 v0, v86, v31
	v_fmac_f32_e32 v24, v80, v23
	v_fmac_f32_e32 v2, v84, v29
	v_mul_f32_e32 v32, v18, v34
	v_dual_mul_f32 v34, v46, v34 :: v_dual_mul_f32 v37, v93, v36
	v_mul_f32_e32 v36, v64, v36
	v_fmac_f32_e32 v5, v71, v4
	v_fma_f32 v4, v57, v6, -v67
	s_delay_alu instid0(VALU_DEP_4)
	v_dual_fmac_f32 v34, v18, v33 :: v_dual_fmac_f32 v7, v73, v6
	v_fma_f32 v6, v54, v14, -v68
	v_fma_f32 v14, v52, v16, -v70
	v_dual_fmac_f32 v17, v79, v16 :: v_dual_fmac_f32 v36, v93, v35
	v_fma_f32 v16, v55, v21, -v72
	v_fma_f32 v21, v53, v23, -v97
	;; [unrolled: 1-line block ×8, first 2 shown]
	v_dual_add_f32 v31, v41, v19 :: v_dual_add_f32 v40, v6, v14
	v_dual_add_f32 v32, v19, v4 :: v_dual_add_f32 v35, v69, v5
	;; [unrolled: 1-line block ×3, first 2 shown]
	v_dual_add_f32 v48, v43, v16 :: v_dual_sub_f32 v33, v5, v7
	v_dual_sub_f32 v46, v15, v17 :: v_dual_add_f32 v5, v5, v7
	v_sub_f32_e32 v50, v22, v24
	v_add_f32_e32 v47, v74, v15
	v_add_f32_e32 v15, v15, v17
	v_dual_add_f32 v49, v16, v21 :: v_dual_sub_f32 v54, v26, v28
	v_dual_add_f32 v51, v75, v22 :: v_dual_add_f32 v22, v22, v24
	v_dual_add_f32 v53, v23, v25 :: v_dual_sub_f32 v64, v2, v0
	v_dual_add_f32 v55, v81, v26 :: v_dual_add_f32 v26, v26, v28
	v_dual_sub_f32 v23, v23, v25 :: v_dual_add_f32 v68, v30, v18
	v_add_f32_e32 v59, v27, v29
	v_dual_sub_f32 v19, v19, v4 :: v_dual_sub_f32 v16, v16, v21
	v_dual_add_f32 v57, v45, v27 :: v_dual_sub_f32 v70, v34, v36
	v_add_f32_e32 v71, v66, v34
	v_add_f32_e32 v34, v34, v36
	v_dual_add_f32 v4, v31, v4 :: v_dual_add_f32 v65, v82, v2
	v_add_f32_e32 v2, v2, v0
	v_add_f32_e32 v67, v38, v30
	v_dual_fmac_f32 v41, -0.5, v32 :: v_dual_sub_f32 v6, v6, v14
	v_fmac_f32_e32 v69, -0.5, v5
	v_dual_add_f32 v5, v37, v14 :: v_dual_fmac_f32 v38, -0.5, v68
	v_fma_f32 v14, -0.5, v40, v42
	v_fma_f32 v42, -0.5, v15, v74
	v_fmac_f32_e32 v43, -0.5, v49
	v_dual_add_f32 v15, v48, v21 :: v_dual_fmac_f32 v66, -0.5, v34
	v_fmac_f32_e32 v75, -0.5, v22
	v_fma_f32 v21, -0.5, v53, v44
	v_fma_f32 v48, -0.5, v26, v81
	v_fmac_f32_e32 v45, -0.5, v59
	v_dual_sub_f32 v27, v27, v29 :: v_dual_sub_f32 v30, v30, v18
	v_add_f32_e32 v40, v47, v17
	v_add_f32_e32 v44, v55, v28
	v_dual_fmac_f32 v82, -0.5, v2 :: v_dual_add_f32 v47, v51, v24
	v_add_f32_e32 v2, v67, v18
	v_fmamk_f32 v18, v33, 0x3f5db3d7, v41
	v_fmamk_f32 v51, v19, 0xbf5db3d7, v69
	v_dual_fmac_f32 v69, 0x3f5db3d7, v19 :: v_dual_fmamk_f32 v24, v70, 0x3f5db3d7, v38
	v_fmamk_f32 v19, v46, 0x3f5db3d7, v14
	v_add_f32_e32 v17, v52, v25
	v_add_f32_e32 v22, v57, v29
	v_dual_fmac_f32 v14, 0xbf5db3d7, v46 :: v_dual_add_f32 v49, v71, v36
	v_fmamk_f32 v46, v6, 0xbf5db3d7, v42
	v_fmac_f32_e32 v42, 0x3f5db3d7, v6
	v_fmamk_f32 v6, v50, 0x3f5db3d7, v43
	v_fmac_f32_e32 v43, 0xbf5db3d7, v50
	v_dual_fmamk_f32 v50, v16, 0xbf5db3d7, v75 :: v_dual_fmamk_f32 v53, v27, 0xbf5db3d7, v82
	v_fmac_f32_e32 v75, 0x3f5db3d7, v16
	v_fmamk_f32 v16, v54, 0x3f5db3d7, v21
	v_dual_fmac_f32 v21, 0xbf5db3d7, v54 :: v_dual_fmamk_f32 v52, v23, 0xbf5db3d7, v48
	v_dual_fmac_f32 v48, 0x3f5db3d7, v23 :: v_dual_fmamk_f32 v23, v64, 0x3f5db3d7, v45
	v_fmac_f32_e32 v82, 0x3f5db3d7, v27
	v_dual_add_f32 v7, v35, v7 :: v_dual_add_f32 v0, v65, v0
	v_dual_fmac_f32 v41, 0xbf5db3d7, v33 :: v_dual_fmac_f32 v38, 0xbf5db3d7, v70
	v_dual_fmac_f32 v45, 0xbf5db3d7, v64 :: v_dual_fmamk_f32 v54, v30, 0xbf5db3d7, v66
	v_fmac_f32_e32 v66, 0x3f5db3d7, v30
	ds_store_2addr_b32 v94, v4, v18 offset0:102 offset1:119
	ds_store_2addr_b32 v87, v5, v19 offset0:153 offset1:170
	;; [unrolled: 1-line block ×6, first 2 shown]
	ds_store_b32 v94, v41 offset:544
	ds_store_b32 v87, v14 offset:748
	;; [unrolled: 1-line block ×6, first 2 shown]
	global_wb scope:SCOPE_SE
	s_wait_dscnt 0x0
	s_barrier_signal -1
	s_barrier_wait -1
	global_inv scope:SCOPE_SE
	ds_load_2addr_b32 v[18:19], v60 offset0:51 offset1:68
	ds_load_2addr_b32 v[30:31], v60 offset0:85 offset1:102
	;; [unrolled: 1-line block ×11, first 2 shown]
	ds_load_b32 v36, v61
	ds_load_b32 v37, v60 offset:1564
	global_wb scope:SCOPE_SE
	s_wait_dscnt 0x0
	s_barrier_signal -1
	s_barrier_wait -1
	global_inv scope:SCOPE_SE
	ds_store_2addr_b32 v60, v39, v56 offset1:17
	ds_store_2addr_b32 v60, v92, v3 offset0:34 offset1:51
	ds_store_2addr_b32 v60, v58, v1 offset0:68 offset1:85
	;; [unrolled: 1-line block ×8, first 2 shown]
	ds_store_b32 v94, v69 offset:544
	ds_store_b32 v87, v42 offset:748
	;; [unrolled: 1-line block ×6, first 2 shown]
	global_wb scope:SCOPE_SE
	s_wait_dscnt 0x0
	s_barrier_signal -1
	s_barrier_wait -1
	global_inv scope:SCOPE_SE
	s_and_saveexec_b32 s0, vcc_lo
	s_cbranch_execz .LBB0_20
; %bb.19:
	v_mul_u32_u24_e32 v0, 7, v12
	v_mul_u32_u24_e32 v42, 7, v76
	v_mad_u32_u24 v12, v12, 7, 0xffffff89
	v_mul_lo_u32 v91, s2, v11
	v_mul_hi_u32 v94, 0xa0a0a0a1, v76
	v_lshlrev_b32_e32 v46, 3, v0
	v_lshlrev_b64_e32 v[8:9], 3, v[8:9]
	s_clause 0x2
	global_load_b128 v[4:7], v46, s[8:9] offset:288
	global_load_b128 v[0:3], v46, s[8:9] offset:272
	;; [unrolled: 1-line block ×3, first 2 shown]
	v_lshlrev_b32_e32 v54, 3, v42
	v_add_nc_u32_e32 v95, 17, v76
	v_lshrrev_b32_e32 v99, 5, v94
	s_clause 0x4
	global_load_b128 v[42:45], v54, s[8:9] offset:288
	global_load_b64 v[58:59], v46, s[8:9] offset:320
	global_load_b128 v[46:49], v54, s[8:9] offset:272
	global_load_b128 v[50:53], v54, s[8:9] offset:304
	global_load_b64 v[70:71], v54, s[8:9] offset:320
	v_lshlrev_b64_e32 v[54:55], 3, v[12:13]
	v_mul_hi_u32 v89, 0xa0a0a0a1, v95
	v_mul_lo_u32 v12, s3, v10
	v_mad_co_u64_u32 v[10:11], null, s2, v10, 0
	v_mul_lo_u32 v99, v99, 51
	v_add_co_u32 v72, vcc_lo, s8, v54
	s_wait_alu 0xfffd
	v_add_co_ci_u32_e32 v73, vcc_lo, s9, v55, vcc_lo
	s_clause 0x3
	global_load_b128 v[54:57], v[72:73], off offset:272
	global_load_b128 v[62:65], v[72:73], off offset:304
	global_load_b128 v[66:69], v[72:73], off offset:288
	global_load_b64 v[72:73], v[72:73], off offset:320
	ds_load_2addr_b32 v[74:75], v60 offset0:119 offset1:136
	ds_load_2addr_b32 v[77:78], v60 offset0:17 offset1:34
	;; [unrolled: 1-line block ×6, first 2 shown]
	v_add_nc_u32_e32 v96, 34, v76
	v_lshrrev_b32_e32 v98, 5, v89
	v_add3_u32 v11, v11, v91, v12
	v_sub_nc_u32_e32 v76, v76, v99
	v_add_nc_u32_e32 v93, 0x400, v60
	v_mul_hi_u32 v97, 0xa0a0a0a1, v96
	v_mul_lo_u32 v12, v98, 51
	v_lshlrev_b64_e32 v[10:11], 3, v[10:11]
	v_add_nc_u32_e32 v92, 0x200, v60
	ds_load_2addr_b32 v[87:88], v60 offset0:153 offset1:170
	ds_load_b32 v109, v60 offset:1564
	ds_load_b32 v110, v61
	v_lshrrev_b32_e32 v97, 5, v97
	v_sub_nc_u32_e32 v12, v95, v12
	v_add_co_u32 v95, vcc_lo, s6, v10
	s_wait_alu 0xfffd
	v_add_co_ci_u32_e32 v101, vcc_lo, s7, v11, vcc_lo
	v_mul_lo_u32 v100, v97, 51
	v_mad_co_u64_u32 v[10:11], null, 0x198, v98, v[12:13]
	v_add_co_u32 v111, vcc_lo, v95, v8
	s_wait_alu 0xfffd
	v_add_co_ci_u32_e32 v112, vcc_lo, v101, v9, vcc_lo
	v_mov_b32_e32 v11, v13
	v_sub_nc_u32_e32 v8, v96, v100
	v_add_nc_u32_e32 v12, 51, v10
	s_delay_alu instid0(VALU_DEP_3) | instskip(NEXT) | instid1(VALU_DEP_3)
	v_lshlrev_b64_e32 v[95:96], 3, v[10:11]
	v_mad_co_u64_u32 v[8:9], null, 0x198, v97, v[8:9]
	s_delay_alu instid0(VALU_DEP_2) | instskip(SKIP_1) | instid1(VALU_DEP_3)
	v_add_co_u32 v95, vcc_lo, v111, v95
	s_wait_alu 0xfffd
	v_add_co_ci_u32_e32 v96, vcc_lo, v112, v96, vcc_lo
	s_wait_loadcnt_dscnt 0xa08
	v_mul_f32_e32 v9, v75, v3
	v_lshlrev_b64_e32 v[97:98], 3, v[12:13]
	v_add_nc_u32_e32 v12, 0x66, v10
	s_delay_alu instid0(VALU_DEP_1) | instskip(SKIP_1) | instid1(VALU_DEP_4)
	v_lshlrev_b64_e32 v[99:100], 3, v[12:13]
	v_add_nc_u32_e32 v12, 0x99, v10
	v_add_co_u32 v97, vcc_lo, v111, v97
	s_wait_alu 0xfffd
	v_add_co_ci_u32_e32 v98, vcc_lo, v112, v98, vcc_lo
	s_delay_alu instid0(VALU_DEP_3) | instskip(SKIP_4) | instid1(VALU_DEP_3)
	v_lshlrev_b64_e32 v[101:102], 3, v[12:13]
	v_add_nc_u32_e32 v12, 0xcc, v10
	v_add_co_u32 v99, vcc_lo, v111, v99
	s_wait_alu 0xfffd
	v_add_co_ci_u32_e32 v100, vcc_lo, v112, v100, vcc_lo
	v_lshlrev_b64_e32 v[103:104], 3, v[12:13]
	v_add_nc_u32_e32 v12, 0xff, v10
	v_add_co_u32 v101, vcc_lo, v111, v101
	s_wait_alu 0xfffd
	v_add_co_ci_u32_e32 v102, vcc_lo, v112, v102, vcc_lo
	s_delay_alu instid0(VALU_DEP_3) | instskip(SKIP_4) | instid1(VALU_DEP_3)
	v_lshlrev_b64_e32 v[105:106], 3, v[12:13]
	v_add_nc_u32_e32 v12, 0x132, v10
	v_add_co_u32 v103, vcc_lo, v111, v103
	s_wait_alu 0xfffd
	v_add_co_ci_u32_e32 v104, vcc_lo, v112, v104, vcc_lo
	v_lshlrev_b64_e32 v[107:108], 3, v[12:13]
	v_add_nc_u32_e32 v12, 0x165, v10
	v_add_co_u32 v10, vcc_lo, v111, v105
	s_wait_alu 0xfffd
	v_add_co_ci_u32_e32 v11, vcc_lo, v112, v106, vcc_lo
	v_mul_f32_e32 v106, v34, v5
	ds_load_2addr_b32 v[60:61], v93 offset0:67 offset1:84
	ds_load_2addr_b32 v[89:90], v93 offset0:33 offset1:50
	v_mul_f32_e32 v105, v21, v7
	s_wait_dscnt 0x6
	v_mul_f32_e32 v5, v83, v5
	v_dual_mul_f32 v7, v80, v7 :: v_dual_lshlrev_b32 v76, 3, v76
	ds_load_2addr_b32 v[91:92], v92 offset0:127 offset1:144
	v_fmac_f32_e32 v105, v80, v6
	v_fma_f32 v34, v34, v4, -v5
	v_fma_f32 v7, v21, v6, -v7
	v_mul_f32_e32 v5, v81, v1
	v_dual_mul_f32 v21, v30, v1 :: v_dual_mul_f32 v80, v27, v3
	ds_load_2addr_b32 v[93:94], v93 offset0:101 offset1:118
	v_add_co_u32 v3, vcc_lo, v111, v76
	v_fma_f32 v27, v27, v2, -v9
	v_fma_f32 v76, v30, v0, -v5
	v_dual_fmac_f32 v21, v0, v81 :: v_dual_fmac_f32 v80, v2, v75
	s_wait_loadcnt_dscnt 0x903
	v_mul_f32_e32 v0, v61, v41
	s_wait_dscnt 0x2
	v_mul_f32_e32 v1, v89, v39
	v_dual_mul_f32 v2, v32, v39 :: v_dual_mul_f32 v39, v29, v41
	v_dual_fmac_f32 v106, v83, v4 :: v_dual_mov_b32 v9, v13
	v_fma_f32 v41, v29, v40, -v0
	s_wait_loadcnt 0x8
	v_mul_f32_e32 v29, v84, v45
	v_fmac_f32_e32 v39, v40, v61
	v_mul_f32_e32 v40, v16, v43
	v_mul_f32_e32 v43, v87, v43
	v_fma_f32 v32, v32, v38, -v1
	v_lshlrev_b64_e32 v[5:6], 3, v[12:13]
	v_fma_f32 v12, v35, v44, -v29
	v_lshlrev_b64_e32 v[29:30], 3, v[8:9]
	v_fmac_f32_e32 v40, v87, v42
	v_fma_f32 v9, v16, v42, -v43
	s_wait_loadcnt 0x6
	v_mul_f32_e32 v42, v82, v49
	s_wait_loadcnt 0x5
	v_mul_f32_e32 v43, v90, v53
	v_fmac_f32_e32 v2, v38, v89
	s_wait_loadcnt 0x4
	v_dual_mul_f32 v38, v35, v45 :: v_dual_mul_f32 v45, v22, v71
	v_mul_f32_e32 v35, v109, v59
	v_fma_f32 v42, v31, v48, -v42
	s_delay_alu instid0(VALU_DEP_3)
	v_dual_mul_f32 v31, v31, v49 :: v_dual_fmac_f32 v38, v84, v44
	v_mul_f32_e32 v44, v85, v47
	v_mul_f32_e32 v47, v18, v47
	;; [unrolled: 1-line block ×3, first 2 shown]
	v_fma_f32 v35, v37, v58, -v35
	s_wait_dscnt 0x1
	v_mul_f32_e32 v37, v91, v51
	v_fma_f32 v43, v33, v52, -v43
	v_fmac_f32_e32 v47, v46, v85
	v_mul_f32_e32 v33, v33, v53
	v_dual_mul_f32 v49, v24, v51 :: v_dual_fmac_f32 v16, v109, v58
	s_wait_loadcnt 0x3
	v_dual_fmac_f32 v31, v48, v82 :: v_dual_mul_f32 v48, v86, v55
	s_wait_dscnt 0x0
	v_dual_mul_f32 v58, v93, v71 :: v_dual_fmac_f32 v33, v52, v90
	v_fma_f32 v18, v18, v46, -v44
	v_fma_f32 v24, v24, v50, -v37
	s_wait_loadcnt 0x2
	v_dual_fmac_f32 v45, v93, v70 :: v_dual_mul_f32 v44, v60, v65
	v_fma_f32 v22, v22, v70, -v58
	v_fmac_f32_e32 v49, v50, v91
	v_dual_mul_f32 v37, v74, v57 :: v_dual_mul_f32 v50, v92, v63
	s_wait_loadcnt 0x1
	v_dual_mul_f32 v46, v20, v69 :: v_dual_mul_f32 v51, v17, v67
	s_wait_loadcnt 0x0
	v_dual_mul_f32 v52, v23, v73 :: v_dual_mul_f32 v53, v88, v67
	v_dual_mul_f32 v58, v94, v73 :: v_dual_mul_f32 v55, v19, v55
	v_dual_mul_f32 v59, v25, v63 :: v_dual_sub_f32 v32, v76, v32
	v_dual_mul_f32 v61, v79, v69 :: v_dual_sub_f32 v16, v106, v16
	;; [unrolled: 1-line block ×4, first 2 shown]
	v_dual_sub_f32 v41, v27, v41 :: v_dual_sub_f32 v24, v18, v24
	v_dual_sub_f32 v65, v78, v105 :: v_dual_sub_f32 v22, v9, v22
	v_dual_sub_f32 v35, v34, v35 :: v_dual_sub_f32 v12, v36, v12
	v_sub_f32_e32 v43, v42, v43
	v_fma_f32 v26, v26, v56, -v37
	v_fma_f32 v28, v28, v64, -v44
	v_add_f32_e32 v44, v41, v65
	v_sub_f32_e32 v49, v47, v49
	v_dual_sub_f32 v7, v15, v7 :: v_dual_fmac_f32 v52, v94, v72
	v_dual_sub_f32 v39, v80, v39 :: v_dual_fmac_f32 v46, v79, v68
	v_sub_f32_e32 v45, v40, v45
	v_fma_f32 v19, v19, v54, -v48
	v_add_f32_e32 v48, v2, v35
	v_fma_f32 v25, v25, v62, -v50
	v_dual_fmac_f32 v51, v88, v66 :: v_dual_sub_f32 v50, v7, v39
	v_fma_f32 v37, v17, v66, -v53
	v_fma_f32 v17, v23, v72, -v58
	v_dual_fmac_f32 v55, v54, v86 :: v_dual_sub_f32 v58, v24, v45
	v_fmac_f32_e32 v59, v62, v92
	v_fma_f32 v20, v20, v68, -v61
	v_fmac_f32_e32 v57, v56, v74
	v_fma_f32 v54, v76, 2.0, -v32
	v_fma_f32 v34, v34, 2.0, -v35
	v_dual_fmac_f32 v63, v64, v60 :: v_dual_add_f32 v56, v43, v38
	v_fma_f32 v9, v9, 2.0, -v22
	v_fma_f32 v36, v36, 2.0, -v12
	s_delay_alu instid0(VALU_DEP_4)
	v_sub_f32_e32 v34, v54, v34
	v_dual_sub_f32 v28, v26, v28 :: v_dual_sub_f32 v33, v31, v33
	v_add_f32_e32 v60, v49, v22
	v_fma_f32 v22, v42, 2.0, -v43
	v_fma_f32 v53, v78, 2.0, -v65
	;; [unrolled: 1-line block ×7, first 2 shown]
	v_sub_f32_e32 v61, v12, v33
	v_fma_f32 v31, v31, 2.0, -v33
	v_fma_f32 v33, v18, 2.0, -v24
	;; [unrolled: 1-line block ×4, first 2 shown]
	v_sub_f32_e32 v43, v77, v46
	v_dual_sub_f32 v45, v19, v25 :: v_dual_fmamk_f32 v18, v60, 0x3f3504f3, v56
	v_dual_sub_f32 v25, v51, v52 :: v_dual_sub_f32 v66, v36, v22
	v_dual_sub_f32 v46, v37, v17 :: v_dual_sub_f32 v23, v32, v16
	s_delay_alu instid0(VALU_DEP_2)
	v_dual_sub_f32 v47, v55, v59 :: v_dual_sub_f32 v70, v45, v25
	v_sub_f32_e32 v52, v14, v20
	v_sub_f32_e32 v20, v57, v63
	v_fma_f32 v63, v65, 2.0, -v44
	v_fma_f32 v2, v2, 2.0, -v48
	;; [unrolled: 1-line block ×3, first 2 shown]
	v_fmamk_f32 v16, v48, 0x3f3504f3, v44
	v_dual_fmamk_f32 v15, v23, 0x3f3504f3, v50 :: v_dual_sub_f32 v72, v52, v20
	s_delay_alu instid0(VALU_DEP_4) | instskip(SKIP_1) | instid1(VALU_DEP_4)
	v_dual_sub_f32 v39, v53, v39 :: v_dual_fmamk_f32 v22, v2, 0xbf3504f3, v63
	v_dual_sub_f32 v59, v35, v27 :: v_dual_fmac_f32 v18, 0x3f3504f3, v58
	v_dual_sub_f32 v27, v41, v21 :: v_dual_fmac_f32 v16, 0x3f3504f3, v23
	v_fma_f32 v64, v32, 2.0, -v23
	v_fmamk_f32 v17, v58, 0x3f3504f3, v61
	v_fma_f32 v67, v38, 2.0, -v56
	v_fma_f32 v49, v49, 2.0, -v60
	;; [unrolled: 1-line block ×4, first 2 shown]
	v_dual_add_f32 v20, v39, v34 :: v_dual_add_f32 v69, v28, v43
	v_fma_f32 v57, v19, 2.0, -v45
	v_fma_f32 v37, v37, 2.0, -v46
	v_add_f32_e32 v71, v47, v46
	v_fma_f32 v7, v7, 2.0, -v50
	v_sub_f32_e32 v65, v62, v31
	v_fma_f32 v68, v24, 2.0, -v58
	v_fma_f32 v12, v12, 2.0, -v61
	;; [unrolled: 1-line block ×4, first 2 shown]
	v_fmamk_f32 v26, v49, 0xbf3504f3, v67
	v_fma_f32 v55, v55, 2.0, -v47
	v_fmac_f32_e32 v15, 0xbf3504f3, v48
	v_fma_f32 v41, v41, 2.0, -v27
	v_fmac_f32_e32 v17, 0xbf3504f3, v60
	v_sub_f32_e32 v60, v73, v32
	v_sub_f32_e32 v48, v57, v37
	v_dual_sub_f32 v9, v33, v9 :: v_dual_fmamk_f32 v28, v71, 0x3f3504f3, v69
	v_sub_f32_e32 v31, v42, v40
	v_fma_f32 v40, v51, 2.0, -v25
	v_fmamk_f32 v21, v64, 0xbf3504f3, v7
	v_fma_f32 v51, v53, 2.0, -v39
	v_fma_f32 v53, v35, 2.0, -v59
	;; [unrolled: 1-line block ×3, first 2 shown]
	v_sub_f32_e32 v74, v55, v40
	v_add_f32_e32 v24, v65, v9
	v_fma_f32 v54, v62, 2.0, -v65
	v_fma_f32 v42, v42, 2.0, -v31
	v_fmamk_f32 v25, v68, 0xbf3504f3, v12
	v_fma_f32 v58, v36, 2.0, -v66
	v_fma_f32 v9, v33, 2.0, -v9
	v_sub_f32_e32 v62, v14, v38
	v_sub_f32_e32 v42, v54, v42
	v_fma_f32 v75, v43, 2.0, -v69
	v_fma_f32 v76, v45, 2.0, -v70
	;; [unrolled: 1-line block ×4, first 2 shown]
	s_wait_alu 0xfffd
	v_add_co_ci_u32_e32 v4, vcc_lo, 0, v112, vcc_lo
	v_dual_sub_f32 v23, v66, v31 :: v_dual_fmac_f32 v26, 0x3f3504f3, v68
	v_sub_f32_e32 v36, v51, v41
	v_fmac_f32_e32 v25, 0xbf3504f3, v49
	v_dual_sub_f32 v41, v58, v9 :: v_dual_fmamk_f32 v46, v77, 0xbf3504f3, v75
	v_fma_f32 v9, v55, 2.0, -v74
	v_fmac_f32_e32 v21, 0xbf3504f3, v2
	v_fma_f32 v2, v73, 2.0, -v60
	v_fma_f32 v14, v14, 2.0, -v62
	;; [unrolled: 1-line block ×3, first 2 shown]
	v_dual_sub_f32 v19, v59, v27 :: v_dual_fmac_f32 v22, 0x3f3504f3, v64
	v_fmamk_f32 v27, v70, 0x3f3504f3, v72
	v_dual_sub_f32 v35, v53, v35 :: v_dual_fmac_f32 v28, 0x3f3504f3, v70
	v_fmamk_f32 v45, v76, 0xbf3504f3, v78
	v_add_co_u32 v0, vcc_lo, v111, v107
	v_fma_f32 v31, v50, 2.0, -v15
	v_fma_f32 v50, v51, 2.0, -v36
	;; [unrolled: 1-line block ×4, first 2 shown]
	v_add_nc_u32_e32 v12, 51, v8
	s_clause 0x3
	global_store_b64 v[3:4], v[41:42], off offset:1632
	global_store_b64 v[3:4], v[25:26], off offset:2040
	;; [unrolled: 1-line block ×4, first 2 shown]
	v_sub_f32_e32 v26, v2, v9
	v_sub_f32_e32 v25, v14, v55
	s_wait_alu 0xfffd
	v_add_co_ci_u32_e32 v1, vcc_lo, v112, v108, vcc_lo
	v_fma_f32 v32, v44, 2.0, -v16
	v_dual_add_f32 v44, v60, v48 :: v_dual_fmac_f32 v27, 0xbf3504f3, v71
	v_dual_sub_f32 v43, v62, v74 :: v_dual_fmac_f32 v46, 0x3f3504f3, v76
	v_fma_f32 v49, v53, 2.0, -v35
	v_fma_f32 v54, v54, 2.0, -v42
	v_fma_f32 v53, v58, 2.0, -v41
	v_fmac_f32_e32 v45, 0xbf3504f3, v77
	v_add_co_u32 v5, vcc_lo, v111, v5
	v_fma_f32 v34, v39, 2.0, -v20
	v_fma_f32 v40, v65, 2.0, -v24
	;; [unrolled: 1-line block ×3, first 2 shown]
	s_wait_alu 0xfffd
	v_add_co_ci_u32_e32 v6, vcc_lo, v112, v6, vcc_lo
	v_fma_f32 v38, v56, 2.0, -v18
	v_fma_f32 v37, v61, 2.0, -v17
	;; [unrolled: 1-line block ×10, first 2 shown]
	s_clause 0xb
	global_store_b64 v[3:4], v[53:54], off
	global_store_b64 v[3:4], v[51:52], off offset:408
	global_store_b64 v[3:4], v[39:40], off offset:816
	;; [unrolled: 1-line block ×3, first 2 shown]
	global_store_b64 v[95:96], v[55:56], off
	global_store_b64 v[97:98], v[41:42], off
	;; [unrolled: 1-line block ×8, first 2 shown]
	v_lshlrev_b64_e32 v[0:1], 3, v[12:13]
	v_add_nc_u32_e32 v12, 0x66, v8
	v_fma_f32 v47, v7, 2.0, -v21
	v_add_co_u32 v2, vcc_lo, v111, v29
	s_wait_alu 0xfffd
	v_add_co_ci_u32_e32 v3, vcc_lo, v112, v30, vcc_lo
	v_lshlrev_b64_e32 v[4:5], 3, v[12:13]
	v_add_nc_u32_e32 v12, 0x99, v8
	v_add_co_u32 v0, vcc_lo, v111, v0
	s_wait_alu 0xfffd
	v_add_co_ci_u32_e32 v1, vcc_lo, v112, v1, vcc_lo
	s_delay_alu instid0(VALU_DEP_3) | instskip(SKIP_4) | instid1(VALU_DEP_3)
	v_lshlrev_b64_e32 v[6:7], 3, v[12:13]
	v_add_nc_u32_e32 v12, 0xcc, v8
	v_add_co_u32 v4, vcc_lo, v111, v4
	s_wait_alu 0xfffd
	v_add_co_ci_u32_e32 v5, vcc_lo, v112, v5, vcc_lo
	v_lshlrev_b64_e32 v[9:10], 3, v[12:13]
	v_add_nc_u32_e32 v12, 0xff, v8
	v_add_co_u32 v6, vcc_lo, v111, v6
	s_wait_alu 0xfffd
	v_add_co_ci_u32_e32 v7, vcc_lo, v112, v7, vcc_lo
	s_delay_alu instid0(VALU_DEP_3) | instskip(SKIP_4) | instid1(VALU_DEP_3)
	v_lshlrev_b64_e32 v[17:18], 3, v[12:13]
	v_add_nc_u32_e32 v12, 0x132, v8
	v_add_co_u32 v9, vcc_lo, v111, v9
	s_wait_alu 0xfffd
	v_add_co_ci_u32_e32 v10, vcc_lo, v112, v10, vcc_lo
	v_lshlrev_b64_e32 v[23:24], 3, v[12:13]
	v_add_nc_u32_e32 v12, 0x165, v8
	v_add_co_u32 v17, vcc_lo, v111, v17
	s_wait_alu 0xfffd
	v_add_co_ci_u32_e32 v18, vcc_lo, v112, v18, vcc_lo
	s_delay_alu instid0(VALU_DEP_3)
	v_lshlrev_b64_e32 v[11:12], 3, v[12:13]
	v_add_co_u32 v13, vcc_lo, v111, v23
	v_fma_f32 v48, v63, 2.0, -v22
	v_fma_f32 v33, v59, 2.0, -v19
	s_wait_alu 0xfffd
	v_add_co_ci_u32_e32 v14, vcc_lo, v112, v24, vcc_lo
	v_add_co_u32 v11, vcc_lo, v111, v11
	s_wait_alu 0xfffd
	v_add_co_ci_u32_e32 v12, vcc_lo, v112, v12, vcc_lo
	s_clause 0x7
	global_store_b64 v[2:3], v[49:50], off
	global_store_b64 v[0:1], v[47:48], off
	;; [unrolled: 1-line block ×8, first 2 shown]
.LBB0_20:
	s_nop 0
	s_sendmsg sendmsg(MSG_DEALLOC_VGPRS)
	s_endpgm
	.section	.rodata,"a",@progbits
	.p2align	6, 0x0
	.amdhsa_kernel fft_rtc_fwd_len408_factors_17_3_8_wgs_51_tpt_17_halfLds_sp_op_CI_CI_unitstride_sbrr_dirReg
		.amdhsa_group_segment_fixed_size 0
		.amdhsa_private_segment_fixed_size 0
		.amdhsa_kernarg_size 104
		.amdhsa_user_sgpr_count 2
		.amdhsa_user_sgpr_dispatch_ptr 0
		.amdhsa_user_sgpr_queue_ptr 0
		.amdhsa_user_sgpr_kernarg_segment_ptr 1
		.amdhsa_user_sgpr_dispatch_id 0
		.amdhsa_user_sgpr_private_segment_size 0
		.amdhsa_wavefront_size32 1
		.amdhsa_uses_dynamic_stack 0
		.amdhsa_enable_private_segment 0
		.amdhsa_system_sgpr_workgroup_id_x 1
		.amdhsa_system_sgpr_workgroup_id_y 0
		.amdhsa_system_sgpr_workgroup_id_z 0
		.amdhsa_system_sgpr_workgroup_info 0
		.amdhsa_system_vgpr_workitem_id 0
		.amdhsa_next_free_vgpr 113
		.amdhsa_next_free_sgpr 39
		.amdhsa_reserve_vcc 1
		.amdhsa_float_round_mode_32 0
		.amdhsa_float_round_mode_16_64 0
		.amdhsa_float_denorm_mode_32 3
		.amdhsa_float_denorm_mode_16_64 3
		.amdhsa_fp16_overflow 0
		.amdhsa_workgroup_processor_mode 1
		.amdhsa_memory_ordered 1
		.amdhsa_forward_progress 0
		.amdhsa_round_robin_scheduling 0
		.amdhsa_exception_fp_ieee_invalid_op 0
		.amdhsa_exception_fp_denorm_src 0
		.amdhsa_exception_fp_ieee_div_zero 0
		.amdhsa_exception_fp_ieee_overflow 0
		.amdhsa_exception_fp_ieee_underflow 0
		.amdhsa_exception_fp_ieee_inexact 0
		.amdhsa_exception_int_div_zero 0
	.end_amdhsa_kernel
	.text
.Lfunc_end0:
	.size	fft_rtc_fwd_len408_factors_17_3_8_wgs_51_tpt_17_halfLds_sp_op_CI_CI_unitstride_sbrr_dirReg, .Lfunc_end0-fft_rtc_fwd_len408_factors_17_3_8_wgs_51_tpt_17_halfLds_sp_op_CI_CI_unitstride_sbrr_dirReg
                                        ; -- End function
	.section	.AMDGPU.csdata,"",@progbits
; Kernel info:
; codeLenInByte = 18040
; NumSgprs: 41
; NumVgprs: 113
; ScratchSize: 0
; MemoryBound: 0
; FloatMode: 240
; IeeeMode: 1
; LDSByteSize: 0 bytes/workgroup (compile time only)
; SGPRBlocks: 5
; VGPRBlocks: 14
; NumSGPRsForWavesPerEU: 41
; NumVGPRsForWavesPerEU: 113
; Occupancy: 12
; WaveLimiterHint : 1
; COMPUTE_PGM_RSRC2:SCRATCH_EN: 0
; COMPUTE_PGM_RSRC2:USER_SGPR: 2
; COMPUTE_PGM_RSRC2:TRAP_HANDLER: 0
; COMPUTE_PGM_RSRC2:TGID_X_EN: 1
; COMPUTE_PGM_RSRC2:TGID_Y_EN: 0
; COMPUTE_PGM_RSRC2:TGID_Z_EN: 0
; COMPUTE_PGM_RSRC2:TIDIG_COMP_CNT: 0
	.text
	.p2alignl 7, 3214868480
	.fill 96, 4, 3214868480
	.type	__hip_cuid_3b3ddfff3f1263da,@object ; @__hip_cuid_3b3ddfff3f1263da
	.section	.bss,"aw",@nobits
	.globl	__hip_cuid_3b3ddfff3f1263da
__hip_cuid_3b3ddfff3f1263da:
	.byte	0                               ; 0x0
	.size	__hip_cuid_3b3ddfff3f1263da, 1

	.ident	"AMD clang version 19.0.0git (https://github.com/RadeonOpenCompute/llvm-project roc-6.4.0 25133 c7fe45cf4b819c5991fe208aaa96edf142730f1d)"
	.section	".note.GNU-stack","",@progbits
	.addrsig
	.addrsig_sym __hip_cuid_3b3ddfff3f1263da
	.amdgpu_metadata
---
amdhsa.kernels:
  - .args:
      - .actual_access:  read_only
        .address_space:  global
        .offset:         0
        .size:           8
        .value_kind:     global_buffer
      - .offset:         8
        .size:           8
        .value_kind:     by_value
      - .actual_access:  read_only
        .address_space:  global
        .offset:         16
        .size:           8
        .value_kind:     global_buffer
      - .actual_access:  read_only
        .address_space:  global
        .offset:         24
        .size:           8
        .value_kind:     global_buffer
      - .actual_access:  read_only
        .address_space:  global
        .offset:         32
        .size:           8
        .value_kind:     global_buffer
      - .offset:         40
        .size:           8
        .value_kind:     by_value
      - .actual_access:  read_only
        .address_space:  global
        .offset:         48
        .size:           8
        .value_kind:     global_buffer
      - .actual_access:  read_only
        .address_space:  global
        .offset:         56
        .size:           8
        .value_kind:     global_buffer
      - .offset:         64
        .size:           4
        .value_kind:     by_value
      - .actual_access:  read_only
        .address_space:  global
        .offset:         72
        .size:           8
        .value_kind:     global_buffer
      - .actual_access:  read_only
        .address_space:  global
        .offset:         80
        .size:           8
        .value_kind:     global_buffer
      - .actual_access:  read_only
        .address_space:  global
        .offset:         88
        .size:           8
        .value_kind:     global_buffer
      - .actual_access:  write_only
        .address_space:  global
        .offset:         96
        .size:           8
        .value_kind:     global_buffer
    .group_segment_fixed_size: 0
    .kernarg_segment_align: 8
    .kernarg_segment_size: 104
    .language:       OpenCL C
    .language_version:
      - 2
      - 0
    .max_flat_workgroup_size: 51
    .name:           fft_rtc_fwd_len408_factors_17_3_8_wgs_51_tpt_17_halfLds_sp_op_CI_CI_unitstride_sbrr_dirReg
    .private_segment_fixed_size: 0
    .sgpr_count:     41
    .sgpr_spill_count: 0
    .symbol:         fft_rtc_fwd_len408_factors_17_3_8_wgs_51_tpt_17_halfLds_sp_op_CI_CI_unitstride_sbrr_dirReg.kd
    .uniform_work_group_size: 1
    .uses_dynamic_stack: false
    .vgpr_count:     113
    .vgpr_spill_count: 0
    .wavefront_size: 32
    .workgroup_processor_mode: 1
amdhsa.target:   amdgcn-amd-amdhsa--gfx1201
amdhsa.version:
  - 1
  - 2
...

	.end_amdgpu_metadata
